;; amdgpu-corpus repo=ROCm/hipCUB kind=compiled arch=gfx90a opt=O3
	.text
	.amdgcn_target "amdgcn-amd-amdhsa--gfx90a"
	.amdhsa_code_object_version 6
	.section	.text._Z16warp_load_kernelILj256ELj4ELj32ELN6hipcub17WarpLoadAlgorithmE0EiEvPT3_S3_,"axG",@progbits,_Z16warp_load_kernelILj256ELj4ELj32ELN6hipcub17WarpLoadAlgorithmE0EiEvPT3_S3_,comdat
	.protected	_Z16warp_load_kernelILj256ELj4ELj32ELN6hipcub17WarpLoadAlgorithmE0EiEvPT3_S3_ ; -- Begin function _Z16warp_load_kernelILj256ELj4ELj32ELN6hipcub17WarpLoadAlgorithmE0EiEvPT3_S3_
	.globl	_Z16warp_load_kernelILj256ELj4ELj32ELN6hipcub17WarpLoadAlgorithmE0EiEvPT3_S3_
	.p2align	8
	.type	_Z16warp_load_kernelILj256ELj4ELj32ELN6hipcub17WarpLoadAlgorithmE0EiEvPT3_S3_,@function
_Z16warp_load_kernelILj256ELj4ELj32ELN6hipcub17WarpLoadAlgorithmE0EiEvPT3_S3_: ; @_Z16warp_load_kernelILj256ELj4ELj32ELN6hipcub17WarpLoadAlgorithmE0EiEvPT3_S3_
; %bb.0:
	s_load_dwordx4 s[0:3], s[4:5], 0x0
	v_lshlrev_b32_e32 v2, 2, v0
	s_lshl_b32 s4, s6, 10
	v_and_b32_e32 v2, 0x380, v2
	v_mbcnt_lo_u32_b32 v1, -1, 0
	v_or_b32_e32 v6, s4, v2
	v_mov_b32_e32 v7, 0
	v_mbcnt_hi_u32_b32 v1, -1, v1
	v_lshlrev_b64 v[2:3], 2, v[6:7]
	s_waitcnt lgkmcnt(0)
	v_mov_b32_e32 v4, s1
	v_add_co_u32_e32 v2, vcc, s0, v2
	v_lshlrev_b32_e32 v1, 4, v1
	v_addc_co_u32_e32 v3, vcc, v4, v3, vcc
	v_and_b32_e32 v1, 0x1f0, v1
	v_add_co_u32_e32 v2, vcc, v2, v1
	v_addc_co_u32_e32 v3, vcc, 0, v3, vcc
	global_load_dwordx4 v[2:5], v[2:3], off
	v_or_b32_e32 v6, s4, v0
	v_lshlrev_b64 v[10:11], 2, v[6:7]
	v_mov_b32_e32 v1, v7
	v_or_b32_e32 v0, 0x100, v6
	v_mov_b32_e32 v12, s3
	v_add_co_u32_e32 v10, vcc, s2, v10
	v_lshlrev_b64 v[0:1], 2, v[0:1]
	v_addc_co_u32_e32 v11, vcc, v12, v11, vcc
	v_mov_b32_e32 v9, v7
	v_or_b32_e32 v8, 0x200, v6
	v_mov_b32_e32 v13, s3
	v_add_co_u32_e32 v0, vcc, s2, v0
	v_lshlrev_b64 v[8:9], 2, v[8:9]
	v_addc_co_u32_e32 v1, vcc, v13, v1, vcc
	v_or_b32_e32 v6, 0x300, v6
	v_mov_b32_e32 v14, s3
	v_add_co_u32_e32 v8, vcc, s2, v8
	v_lshlrev_b64 v[6:7], 2, v[6:7]
	v_addc_co_u32_e32 v9, vcc, v14, v9, vcc
	v_mov_b32_e32 v15, s3
	v_add_co_u32_e32 v6, vcc, s2, v6
	v_addc_co_u32_e32 v7, vcc, v15, v7, vcc
	s_waitcnt vmcnt(0)
	global_store_dword v[10:11], v2, off
	global_store_dword v[0:1], v3, off
	;; [unrolled: 1-line block ×4, first 2 shown]
	s_endpgm
	.section	.rodata,"a",@progbits
	.p2align	6, 0x0
	.amdhsa_kernel _Z16warp_load_kernelILj256ELj4ELj32ELN6hipcub17WarpLoadAlgorithmE0EiEvPT3_S3_
		.amdhsa_group_segment_fixed_size 0
		.amdhsa_private_segment_fixed_size 0
		.amdhsa_kernarg_size 16
		.amdhsa_user_sgpr_count 6
		.amdhsa_user_sgpr_private_segment_buffer 1
		.amdhsa_user_sgpr_dispatch_ptr 0
		.amdhsa_user_sgpr_queue_ptr 0
		.amdhsa_user_sgpr_kernarg_segment_ptr 1
		.amdhsa_user_sgpr_dispatch_id 0
		.amdhsa_user_sgpr_flat_scratch_init 0
		.amdhsa_user_sgpr_kernarg_preload_length 0
		.amdhsa_user_sgpr_kernarg_preload_offset 0
		.amdhsa_user_sgpr_private_segment_size 0
		.amdhsa_uses_dynamic_stack 0
		.amdhsa_system_sgpr_private_segment_wavefront_offset 0
		.amdhsa_system_sgpr_workgroup_id_x 1
		.amdhsa_system_sgpr_workgroup_id_y 0
		.amdhsa_system_sgpr_workgroup_id_z 0
		.amdhsa_system_sgpr_workgroup_info 0
		.amdhsa_system_vgpr_workitem_id 0
		.amdhsa_next_free_vgpr 16
		.amdhsa_next_free_sgpr 7
		.amdhsa_accum_offset 16
		.amdhsa_reserve_vcc 1
		.amdhsa_reserve_flat_scratch 0
		.amdhsa_float_round_mode_32 0
		.amdhsa_float_round_mode_16_64 0
		.amdhsa_float_denorm_mode_32 3
		.amdhsa_float_denorm_mode_16_64 3
		.amdhsa_dx10_clamp 1
		.amdhsa_ieee_mode 1
		.amdhsa_fp16_overflow 0
		.amdhsa_tg_split 0
		.amdhsa_exception_fp_ieee_invalid_op 0
		.amdhsa_exception_fp_denorm_src 0
		.amdhsa_exception_fp_ieee_div_zero 0
		.amdhsa_exception_fp_ieee_overflow 0
		.amdhsa_exception_fp_ieee_underflow 0
		.amdhsa_exception_fp_ieee_inexact 0
		.amdhsa_exception_int_div_zero 0
	.end_amdhsa_kernel
	.section	.text._Z16warp_load_kernelILj256ELj4ELj32ELN6hipcub17WarpLoadAlgorithmE0EiEvPT3_S3_,"axG",@progbits,_Z16warp_load_kernelILj256ELj4ELj32ELN6hipcub17WarpLoadAlgorithmE0EiEvPT3_S3_,comdat
.Lfunc_end0:
	.size	_Z16warp_load_kernelILj256ELj4ELj32ELN6hipcub17WarpLoadAlgorithmE0EiEvPT3_S3_, .Lfunc_end0-_Z16warp_load_kernelILj256ELj4ELj32ELN6hipcub17WarpLoadAlgorithmE0EiEvPT3_S3_
                                        ; -- End function
	.section	.AMDGPU.csdata,"",@progbits
; Kernel info:
; codeLenInByte = 256
; NumSgprs: 11
; NumVgprs: 16
; NumAgprs: 0
; TotalNumVgprs: 16
; ScratchSize: 0
; MemoryBound: 0
; FloatMode: 240
; IeeeMode: 1
; LDSByteSize: 0 bytes/workgroup (compile time only)
; SGPRBlocks: 1
; VGPRBlocks: 1
; NumSGPRsForWavesPerEU: 11
; NumVGPRsForWavesPerEU: 16
; AccumOffset: 16
; Occupancy: 8
; WaveLimiterHint : 0
; COMPUTE_PGM_RSRC2:SCRATCH_EN: 0
; COMPUTE_PGM_RSRC2:USER_SGPR: 6
; COMPUTE_PGM_RSRC2:TRAP_HANDLER: 0
; COMPUTE_PGM_RSRC2:TGID_X_EN: 1
; COMPUTE_PGM_RSRC2:TGID_Y_EN: 0
; COMPUTE_PGM_RSRC2:TGID_Z_EN: 0
; COMPUTE_PGM_RSRC2:TIDIG_COMP_CNT: 0
; COMPUTE_PGM_RSRC3_GFX90A:ACCUM_OFFSET: 3
; COMPUTE_PGM_RSRC3_GFX90A:TG_SPLIT: 0
	.section	.text._Z16warp_load_kernelILj256ELj4ELj32ELN6hipcub17WarpLoadAlgorithmE1EiEvPT3_S3_,"axG",@progbits,_Z16warp_load_kernelILj256ELj4ELj32ELN6hipcub17WarpLoadAlgorithmE1EiEvPT3_S3_,comdat
	.protected	_Z16warp_load_kernelILj256ELj4ELj32ELN6hipcub17WarpLoadAlgorithmE1EiEvPT3_S3_ ; -- Begin function _Z16warp_load_kernelILj256ELj4ELj32ELN6hipcub17WarpLoadAlgorithmE1EiEvPT3_S3_
	.globl	_Z16warp_load_kernelILj256ELj4ELj32ELN6hipcub17WarpLoadAlgorithmE1EiEvPT3_S3_
	.p2align	8
	.type	_Z16warp_load_kernelILj256ELj4ELj32ELN6hipcub17WarpLoadAlgorithmE1EiEvPT3_S3_,@function
_Z16warp_load_kernelILj256ELj4ELj32ELN6hipcub17WarpLoadAlgorithmE1EiEvPT3_S3_: ; @_Z16warp_load_kernelILj256ELj4ELj32ELN6hipcub17WarpLoadAlgorithmE1EiEvPT3_S3_
; %bb.0:
	s_load_dwordx4 s[0:3], s[4:5], 0x0
	v_lshlrev_b32_e32 v2, 2, v0
	s_lshl_b32 s4, s6, 10
	v_and_b32_e32 v2, 0x380, v2
	v_mbcnt_lo_u32_b32 v1, -1, 0
	v_or_b32_e32 v2, s4, v2
	v_mov_b32_e32 v3, 0
	v_mbcnt_hi_u32_b32 v1, -1, v1
	v_lshlrev_b64 v[4:5], 2, v[2:3]
	v_and_b32_e32 v1, 31, v1
	s_waitcnt lgkmcnt(0)
	v_mov_b32_e32 v2, s1
	v_add_co_u32_e32 v4, vcc, s0, v4
	v_addc_co_u32_e32 v2, vcc, v2, v5, vcc
	v_lshlrev_b32_e32 v1, 2, v1
	v_add_co_u32_e32 v4, vcc, v4, v1
	v_addc_co_u32_e32 v5, vcc, 0, v2, vcc
	global_load_dword v8, v[4:5], off
	global_load_dword v9, v[4:5], off offset:128
	global_load_dword v10, v[4:5], off offset:256
	;; [unrolled: 1-line block ×3, first 2 shown]
	v_or_b32_e32 v2, s4, v0
	v_lshlrev_b64 v[6:7], 2, v[2:3]
	v_mov_b32_e32 v1, v3
	v_or_b32_e32 v0, 0x100, v2
	v_mov_b32_e32 v12, s3
	v_add_co_u32_e32 v6, vcc, s2, v6
	v_lshlrev_b64 v[0:1], 2, v[0:1]
	v_addc_co_u32_e32 v7, vcc, v12, v7, vcc
	v_mov_b32_e32 v5, v3
	v_or_b32_e32 v4, 0x200, v2
	v_mov_b32_e32 v13, s3
	v_add_co_u32_e32 v0, vcc, s2, v0
	v_lshlrev_b64 v[4:5], 2, v[4:5]
	v_addc_co_u32_e32 v1, vcc, v13, v1, vcc
	v_or_b32_e32 v2, 0x300, v2
	v_mov_b32_e32 v14, s3
	v_add_co_u32_e32 v4, vcc, s2, v4
	v_lshlrev_b64 v[2:3], 2, v[2:3]
	v_addc_co_u32_e32 v5, vcc, v14, v5, vcc
	v_mov_b32_e32 v15, s3
	v_add_co_u32_e32 v2, vcc, s2, v2
	v_addc_co_u32_e32 v3, vcc, v15, v3, vcc
	s_waitcnt vmcnt(3)
	global_store_dword v[6:7], v8, off
	s_waitcnt vmcnt(3)
	global_store_dword v[0:1], v9, off
	;; [unrolled: 2-line block ×4, first 2 shown]
	s_endpgm
	.section	.rodata,"a",@progbits
	.p2align	6, 0x0
	.amdhsa_kernel _Z16warp_load_kernelILj256ELj4ELj32ELN6hipcub17WarpLoadAlgorithmE1EiEvPT3_S3_
		.amdhsa_group_segment_fixed_size 0
		.amdhsa_private_segment_fixed_size 0
		.amdhsa_kernarg_size 16
		.amdhsa_user_sgpr_count 6
		.amdhsa_user_sgpr_private_segment_buffer 1
		.amdhsa_user_sgpr_dispatch_ptr 0
		.amdhsa_user_sgpr_queue_ptr 0
		.amdhsa_user_sgpr_kernarg_segment_ptr 1
		.amdhsa_user_sgpr_dispatch_id 0
		.amdhsa_user_sgpr_flat_scratch_init 0
		.amdhsa_user_sgpr_kernarg_preload_length 0
		.amdhsa_user_sgpr_kernarg_preload_offset 0
		.amdhsa_user_sgpr_private_segment_size 0
		.amdhsa_uses_dynamic_stack 0
		.amdhsa_system_sgpr_private_segment_wavefront_offset 0
		.amdhsa_system_sgpr_workgroup_id_x 1
		.amdhsa_system_sgpr_workgroup_id_y 0
		.amdhsa_system_sgpr_workgroup_id_z 0
		.amdhsa_system_sgpr_workgroup_info 0
		.amdhsa_system_vgpr_workitem_id 0
		.amdhsa_next_free_vgpr 16
		.amdhsa_next_free_sgpr 7
		.amdhsa_accum_offset 16
		.amdhsa_reserve_vcc 1
		.amdhsa_reserve_flat_scratch 0
		.amdhsa_float_round_mode_32 0
		.amdhsa_float_round_mode_16_64 0
		.amdhsa_float_denorm_mode_32 3
		.amdhsa_float_denorm_mode_16_64 3
		.amdhsa_dx10_clamp 1
		.amdhsa_ieee_mode 1
		.amdhsa_fp16_overflow 0
		.amdhsa_tg_split 0
		.amdhsa_exception_fp_ieee_invalid_op 0
		.amdhsa_exception_fp_denorm_src 0
		.amdhsa_exception_fp_ieee_div_zero 0
		.amdhsa_exception_fp_ieee_overflow 0
		.amdhsa_exception_fp_ieee_underflow 0
		.amdhsa_exception_fp_ieee_inexact 0
		.amdhsa_exception_int_div_zero 0
	.end_amdhsa_kernel
	.section	.text._Z16warp_load_kernelILj256ELj4ELj32ELN6hipcub17WarpLoadAlgorithmE1EiEvPT3_S3_,"axG",@progbits,_Z16warp_load_kernelILj256ELj4ELj32ELN6hipcub17WarpLoadAlgorithmE1EiEvPT3_S3_,comdat
.Lfunc_end1:
	.size	_Z16warp_load_kernelILj256ELj4ELj32ELN6hipcub17WarpLoadAlgorithmE1EiEvPT3_S3_, .Lfunc_end1-_Z16warp_load_kernelILj256ELj4ELj32ELN6hipcub17WarpLoadAlgorithmE1EiEvPT3_S3_
                                        ; -- End function
	.section	.AMDGPU.csdata,"",@progbits
; Kernel info:
; codeLenInByte = 288
; NumSgprs: 11
; NumVgprs: 16
; NumAgprs: 0
; TotalNumVgprs: 16
; ScratchSize: 0
; MemoryBound: 0
; FloatMode: 240
; IeeeMode: 1
; LDSByteSize: 0 bytes/workgroup (compile time only)
; SGPRBlocks: 1
; VGPRBlocks: 1
; NumSGPRsForWavesPerEU: 11
; NumVGPRsForWavesPerEU: 16
; AccumOffset: 16
; Occupancy: 8
; WaveLimiterHint : 1
; COMPUTE_PGM_RSRC2:SCRATCH_EN: 0
; COMPUTE_PGM_RSRC2:USER_SGPR: 6
; COMPUTE_PGM_RSRC2:TRAP_HANDLER: 0
; COMPUTE_PGM_RSRC2:TGID_X_EN: 1
; COMPUTE_PGM_RSRC2:TGID_Y_EN: 0
; COMPUTE_PGM_RSRC2:TGID_Z_EN: 0
; COMPUTE_PGM_RSRC2:TIDIG_COMP_CNT: 0
; COMPUTE_PGM_RSRC3_GFX90A:ACCUM_OFFSET: 3
; COMPUTE_PGM_RSRC3_GFX90A:TG_SPLIT: 0
	.section	.text._Z16warp_load_kernelILj256ELj4ELj32ELN6hipcub17WarpLoadAlgorithmE2EiEvPT3_S3_,"axG",@progbits,_Z16warp_load_kernelILj256ELj4ELj32ELN6hipcub17WarpLoadAlgorithmE2EiEvPT3_S3_,comdat
	.protected	_Z16warp_load_kernelILj256ELj4ELj32ELN6hipcub17WarpLoadAlgorithmE2EiEvPT3_S3_ ; -- Begin function _Z16warp_load_kernelILj256ELj4ELj32ELN6hipcub17WarpLoadAlgorithmE2EiEvPT3_S3_
	.globl	_Z16warp_load_kernelILj256ELj4ELj32ELN6hipcub17WarpLoadAlgorithmE2EiEvPT3_S3_
	.p2align	8
	.type	_Z16warp_load_kernelILj256ELj4ELj32ELN6hipcub17WarpLoadAlgorithmE2EiEvPT3_S3_,@function
_Z16warp_load_kernelILj256ELj4ELj32ELN6hipcub17WarpLoadAlgorithmE2EiEvPT3_S3_: ; @_Z16warp_load_kernelILj256ELj4ELj32ELN6hipcub17WarpLoadAlgorithmE2EiEvPT3_S3_
; %bb.0:
	s_load_dwordx4 s[0:3], s[4:5], 0x0
	v_lshlrev_b32_e32 v2, 2, v0
	s_lshl_b32 s4, s6, 10
	v_and_b32_e32 v2, 0x380, v2
	v_mbcnt_lo_u32_b32 v1, -1, 0
	v_or_b32_e32 v6, s4, v2
	v_mov_b32_e32 v7, 0
	v_mbcnt_hi_u32_b32 v1, -1, v1
	v_lshlrev_b64 v[2:3], 2, v[6:7]
	v_and_b32_e32 v1, 31, v1
	s_waitcnt lgkmcnt(0)
	v_mov_b32_e32 v4, s1
	v_add_co_u32_e32 v2, vcc, s0, v2
	v_addc_co_u32_e32 v3, vcc, v4, v3, vcc
	v_lshlrev_b32_e32 v1, 4, v1
	v_add_co_u32_e32 v2, vcc, v2, v1
	v_addc_co_u32_e32 v3, vcc, 0, v3, vcc
	global_load_dwordx4 v[2:5], v[2:3], off
	v_or_b32_e32 v6, s4, v0
	v_lshlrev_b64 v[10:11], 2, v[6:7]
	v_mov_b32_e32 v1, v7
	v_or_b32_e32 v0, 0x100, v6
	v_mov_b32_e32 v12, s3
	v_add_co_u32_e32 v10, vcc, s2, v10
	v_lshlrev_b64 v[0:1], 2, v[0:1]
	v_addc_co_u32_e32 v11, vcc, v12, v11, vcc
	v_mov_b32_e32 v9, v7
	v_or_b32_e32 v8, 0x200, v6
	v_mov_b32_e32 v13, s3
	v_add_co_u32_e32 v0, vcc, s2, v0
	v_lshlrev_b64 v[8:9], 2, v[8:9]
	v_addc_co_u32_e32 v1, vcc, v13, v1, vcc
	v_or_b32_e32 v6, 0x300, v6
	v_mov_b32_e32 v14, s3
	v_add_co_u32_e32 v8, vcc, s2, v8
	v_lshlrev_b64 v[6:7], 2, v[6:7]
	v_addc_co_u32_e32 v9, vcc, v14, v9, vcc
	v_mov_b32_e32 v15, s3
	v_add_co_u32_e32 v6, vcc, s2, v6
	v_addc_co_u32_e32 v7, vcc, v15, v7, vcc
	s_waitcnt vmcnt(0)
	global_store_dword v[10:11], v2, off
	global_store_dword v[0:1], v3, off
	;; [unrolled: 1-line block ×4, first 2 shown]
	s_endpgm
	.section	.rodata,"a",@progbits
	.p2align	6, 0x0
	.amdhsa_kernel _Z16warp_load_kernelILj256ELj4ELj32ELN6hipcub17WarpLoadAlgorithmE2EiEvPT3_S3_
		.amdhsa_group_segment_fixed_size 0
		.amdhsa_private_segment_fixed_size 0
		.amdhsa_kernarg_size 16
		.amdhsa_user_sgpr_count 6
		.amdhsa_user_sgpr_private_segment_buffer 1
		.amdhsa_user_sgpr_dispatch_ptr 0
		.amdhsa_user_sgpr_queue_ptr 0
		.amdhsa_user_sgpr_kernarg_segment_ptr 1
		.amdhsa_user_sgpr_dispatch_id 0
		.amdhsa_user_sgpr_flat_scratch_init 0
		.amdhsa_user_sgpr_kernarg_preload_length 0
		.amdhsa_user_sgpr_kernarg_preload_offset 0
		.amdhsa_user_sgpr_private_segment_size 0
		.amdhsa_uses_dynamic_stack 0
		.amdhsa_system_sgpr_private_segment_wavefront_offset 0
		.amdhsa_system_sgpr_workgroup_id_x 1
		.amdhsa_system_sgpr_workgroup_id_y 0
		.amdhsa_system_sgpr_workgroup_id_z 0
		.amdhsa_system_sgpr_workgroup_info 0
		.amdhsa_system_vgpr_workitem_id 0
		.amdhsa_next_free_vgpr 16
		.amdhsa_next_free_sgpr 7
		.amdhsa_accum_offset 16
		.amdhsa_reserve_vcc 1
		.amdhsa_reserve_flat_scratch 0
		.amdhsa_float_round_mode_32 0
		.amdhsa_float_round_mode_16_64 0
		.amdhsa_float_denorm_mode_32 3
		.amdhsa_float_denorm_mode_16_64 3
		.amdhsa_dx10_clamp 1
		.amdhsa_ieee_mode 1
		.amdhsa_fp16_overflow 0
		.amdhsa_tg_split 0
		.amdhsa_exception_fp_ieee_invalid_op 0
		.amdhsa_exception_fp_denorm_src 0
		.amdhsa_exception_fp_ieee_div_zero 0
		.amdhsa_exception_fp_ieee_overflow 0
		.amdhsa_exception_fp_ieee_underflow 0
		.amdhsa_exception_fp_ieee_inexact 0
		.amdhsa_exception_int_div_zero 0
	.end_amdhsa_kernel
	.section	.text._Z16warp_load_kernelILj256ELj4ELj32ELN6hipcub17WarpLoadAlgorithmE2EiEvPT3_S3_,"axG",@progbits,_Z16warp_load_kernelILj256ELj4ELj32ELN6hipcub17WarpLoadAlgorithmE2EiEvPT3_S3_,comdat
.Lfunc_end2:
	.size	_Z16warp_load_kernelILj256ELj4ELj32ELN6hipcub17WarpLoadAlgorithmE2EiEvPT3_S3_, .Lfunc_end2-_Z16warp_load_kernelILj256ELj4ELj32ELN6hipcub17WarpLoadAlgorithmE2EiEvPT3_S3_
                                        ; -- End function
	.section	.AMDGPU.csdata,"",@progbits
; Kernel info:
; codeLenInByte = 252
; NumSgprs: 11
; NumVgprs: 16
; NumAgprs: 0
; TotalNumVgprs: 16
; ScratchSize: 0
; MemoryBound: 0
; FloatMode: 240
; IeeeMode: 1
; LDSByteSize: 0 bytes/workgroup (compile time only)
; SGPRBlocks: 1
; VGPRBlocks: 1
; NumSGPRsForWavesPerEU: 11
; NumVGPRsForWavesPerEU: 16
; AccumOffset: 16
; Occupancy: 8
; WaveLimiterHint : 0
; COMPUTE_PGM_RSRC2:SCRATCH_EN: 0
; COMPUTE_PGM_RSRC2:USER_SGPR: 6
; COMPUTE_PGM_RSRC2:TRAP_HANDLER: 0
; COMPUTE_PGM_RSRC2:TGID_X_EN: 1
; COMPUTE_PGM_RSRC2:TGID_Y_EN: 0
; COMPUTE_PGM_RSRC2:TGID_Z_EN: 0
; COMPUTE_PGM_RSRC2:TIDIG_COMP_CNT: 0
; COMPUTE_PGM_RSRC3_GFX90A:ACCUM_OFFSET: 3
; COMPUTE_PGM_RSRC3_GFX90A:TG_SPLIT: 0
	.section	.text._Z16warp_load_kernelILj256ELj4ELj32ELN6hipcub17WarpLoadAlgorithmE3EiEvPT3_S3_,"axG",@progbits,_Z16warp_load_kernelILj256ELj4ELj32ELN6hipcub17WarpLoadAlgorithmE3EiEvPT3_S3_,comdat
	.protected	_Z16warp_load_kernelILj256ELj4ELj32ELN6hipcub17WarpLoadAlgorithmE3EiEvPT3_S3_ ; -- Begin function _Z16warp_load_kernelILj256ELj4ELj32ELN6hipcub17WarpLoadAlgorithmE3EiEvPT3_S3_
	.globl	_Z16warp_load_kernelILj256ELj4ELj32ELN6hipcub17WarpLoadAlgorithmE3EiEvPT3_S3_
	.p2align	8
	.type	_Z16warp_load_kernelILj256ELj4ELj32ELN6hipcub17WarpLoadAlgorithmE3EiEvPT3_S3_,@function
_Z16warp_load_kernelILj256ELj4ELj32ELN6hipcub17WarpLoadAlgorithmE3EiEvPT3_S3_: ; @_Z16warp_load_kernelILj256ELj4ELj32ELN6hipcub17WarpLoadAlgorithmE3EiEvPT3_S3_
; %bb.0:
	s_load_dwordx4 s[0:3], s[4:5], 0x0
	v_lshrrev_b32_e32 v6, 5, v0
	s_lshl_b32 s4, s6, 10
	v_mbcnt_lo_u32_b32 v1, -1, 0
	v_lshl_or_b32 v2, v6, 7, s4
	v_mov_b32_e32 v3, 0
	v_mbcnt_hi_u32_b32 v1, -1, v1
	v_lshlrev_b64 v[4:5], 2, v[2:3]
	v_and_b32_e32 v8, 31, v1
	s_waitcnt lgkmcnt(0)
	v_mov_b32_e32 v1, s1
	v_add_co_u32_e32 v2, vcc, s0, v4
	v_addc_co_u32_e32 v1, vcc, v1, v5, vcc
	v_lshlrev_b32_e32 v7, 2, v8
	v_add_co_u32_e32 v4, vcc, v2, v7
	v_addc_co_u32_e32 v5, vcc, 0, v1, vcc
	global_load_dword v12, v[4:5], off
	global_load_dword v13, v[4:5], off offset:128
	global_load_dword v14, v[4:5], off offset:256
	;; [unrolled: 1-line block ×3, first 2 shown]
	v_or_b32_e32 v2, s4, v0
	v_lshl_or_b32 v16, v6, 9, v7
	v_lshlrev_b64 v[6:7], 2, v[2:3]
	v_or_b32_e32 v0, 0x100, v2
	v_or_b32_e32 v4, 0x200, v2
	;; [unrolled: 1-line block ×3, first 2 shown]
	v_mov_b32_e32 v1, v3
	v_mad_u32_u24 v17, v8, 12, v16
	v_lshlrev_b64 v[8:9], 2, v[2:3]
	v_mov_b32_e32 v2, s3
	v_add_co_u32_e32 v6, vcc, s2, v6
	v_lshlrev_b64 v[0:1], 2, v[0:1]
	v_addc_co_u32_e32 v7, vcc, v2, v7, vcc
	v_mov_b32_e32 v5, v3
	v_mov_b32_e32 v3, s3
	v_add_co_u32_e32 v10, vcc, s2, v0
	v_addc_co_u32_e32 v11, vcc, v3, v1, vcc
	v_lshlrev_b64 v[4:5], 2, v[4:5]
	v_mov_b32_e32 v18, s3
	v_add_co_u32_e32 v4, vcc, s2, v4
	v_addc_co_u32_e32 v5, vcc, v18, v5, vcc
	v_mov_b32_e32 v19, s3
	v_add_co_u32_e32 v8, vcc, s2, v8
	v_addc_co_u32_e32 v9, vcc, v19, v9, vcc
	s_waitcnt vmcnt(2)
	ds_write2_b32 v16, v12, v13 offset1:32
	s_waitcnt vmcnt(0)
	ds_write2_b32 v16, v14, v15 offset0:64 offset1:96
	; wave barrier
	ds_read_b128 v[0:3], v17
	s_waitcnt lgkmcnt(0)
	global_store_dword v[6:7], v0, off
	global_store_dword v[10:11], v1, off
	;; [unrolled: 1-line block ×4, first 2 shown]
	s_endpgm
	.section	.rodata,"a",@progbits
	.p2align	6, 0x0
	.amdhsa_kernel _Z16warp_load_kernelILj256ELj4ELj32ELN6hipcub17WarpLoadAlgorithmE3EiEvPT3_S3_
		.amdhsa_group_segment_fixed_size 4096
		.amdhsa_private_segment_fixed_size 0
		.amdhsa_kernarg_size 16
		.amdhsa_user_sgpr_count 6
		.amdhsa_user_sgpr_private_segment_buffer 1
		.amdhsa_user_sgpr_dispatch_ptr 0
		.amdhsa_user_sgpr_queue_ptr 0
		.amdhsa_user_sgpr_kernarg_segment_ptr 1
		.amdhsa_user_sgpr_dispatch_id 0
		.amdhsa_user_sgpr_flat_scratch_init 0
		.amdhsa_user_sgpr_kernarg_preload_length 0
		.amdhsa_user_sgpr_kernarg_preload_offset 0
		.amdhsa_user_sgpr_private_segment_size 0
		.amdhsa_uses_dynamic_stack 0
		.amdhsa_system_sgpr_private_segment_wavefront_offset 0
		.amdhsa_system_sgpr_workgroup_id_x 1
		.amdhsa_system_sgpr_workgroup_id_y 0
		.amdhsa_system_sgpr_workgroup_id_z 0
		.amdhsa_system_sgpr_workgroup_info 0
		.amdhsa_system_vgpr_workitem_id 0
		.amdhsa_next_free_vgpr 20
		.amdhsa_next_free_sgpr 7
		.amdhsa_accum_offset 20
		.amdhsa_reserve_vcc 1
		.amdhsa_reserve_flat_scratch 0
		.amdhsa_float_round_mode_32 0
		.amdhsa_float_round_mode_16_64 0
		.amdhsa_float_denorm_mode_32 3
		.amdhsa_float_denorm_mode_16_64 3
		.amdhsa_dx10_clamp 1
		.amdhsa_ieee_mode 1
		.amdhsa_fp16_overflow 0
		.amdhsa_tg_split 0
		.amdhsa_exception_fp_ieee_invalid_op 0
		.amdhsa_exception_fp_denorm_src 0
		.amdhsa_exception_fp_ieee_div_zero 0
		.amdhsa_exception_fp_ieee_overflow 0
		.amdhsa_exception_fp_ieee_underflow 0
		.amdhsa_exception_fp_ieee_inexact 0
		.amdhsa_exception_int_div_zero 0
	.end_amdhsa_kernel
	.section	.text._Z16warp_load_kernelILj256ELj4ELj32ELN6hipcub17WarpLoadAlgorithmE3EiEvPT3_S3_,"axG",@progbits,_Z16warp_load_kernelILj256ELj4ELj32ELN6hipcub17WarpLoadAlgorithmE3EiEvPT3_S3_,comdat
.Lfunc_end3:
	.size	_Z16warp_load_kernelILj256ELj4ELj32ELN6hipcub17WarpLoadAlgorithmE3EiEvPT3_S3_, .Lfunc_end3-_Z16warp_load_kernelILj256ELj4ELj32ELN6hipcub17WarpLoadAlgorithmE3EiEvPT3_S3_
                                        ; -- End function
	.section	.AMDGPU.csdata,"",@progbits
; Kernel info:
; codeLenInByte = 320
; NumSgprs: 11
; NumVgprs: 20
; NumAgprs: 0
; TotalNumVgprs: 20
; ScratchSize: 0
; MemoryBound: 0
; FloatMode: 240
; IeeeMode: 1
; LDSByteSize: 4096 bytes/workgroup (compile time only)
; SGPRBlocks: 1
; VGPRBlocks: 2
; NumSGPRsForWavesPerEU: 11
; NumVGPRsForWavesPerEU: 20
; AccumOffset: 20
; Occupancy: 8
; WaveLimiterHint : 1
; COMPUTE_PGM_RSRC2:SCRATCH_EN: 0
; COMPUTE_PGM_RSRC2:USER_SGPR: 6
; COMPUTE_PGM_RSRC2:TRAP_HANDLER: 0
; COMPUTE_PGM_RSRC2:TGID_X_EN: 1
; COMPUTE_PGM_RSRC2:TGID_Y_EN: 0
; COMPUTE_PGM_RSRC2:TGID_Z_EN: 0
; COMPUTE_PGM_RSRC2:TIDIG_COMP_CNT: 0
; COMPUTE_PGM_RSRC3_GFX90A:ACCUM_OFFSET: 4
; COMPUTE_PGM_RSRC3_GFX90A:TG_SPLIT: 0
	.section	.text._Z16warp_load_kernelILj256ELj8ELj32ELN6hipcub17WarpLoadAlgorithmE0EiEvPT3_S3_,"axG",@progbits,_Z16warp_load_kernelILj256ELj8ELj32ELN6hipcub17WarpLoadAlgorithmE0EiEvPT3_S3_,comdat
	.protected	_Z16warp_load_kernelILj256ELj8ELj32ELN6hipcub17WarpLoadAlgorithmE0EiEvPT3_S3_ ; -- Begin function _Z16warp_load_kernelILj256ELj8ELj32ELN6hipcub17WarpLoadAlgorithmE0EiEvPT3_S3_
	.globl	_Z16warp_load_kernelILj256ELj8ELj32ELN6hipcub17WarpLoadAlgorithmE0EiEvPT3_S3_
	.p2align	8
	.type	_Z16warp_load_kernelILj256ELj8ELj32ELN6hipcub17WarpLoadAlgorithmE0EiEvPT3_S3_,@function
_Z16warp_load_kernelILj256ELj8ELj32ELN6hipcub17WarpLoadAlgorithmE0EiEvPT3_S3_: ; @_Z16warp_load_kernelILj256ELj8ELj32ELN6hipcub17WarpLoadAlgorithmE0EiEvPT3_S3_
; %bb.0:
	s_load_dwordx4 s[0:3], s[4:5], 0x0
	v_lshlrev_b32_e32 v2, 3, v0
	s_lshl_b32 s4, s6, 11
	v_and_b32_e32 v2, 0x700, v2
	v_mbcnt_lo_u32_b32 v1, -1, 0
	v_or_b32_e32 v10, s4, v2
	v_mov_b32_e32 v11, 0
	v_mbcnt_hi_u32_b32 v1, -1, v1
	v_lshlrev_b64 v[2:3], 2, v[10:11]
	s_waitcnt lgkmcnt(0)
	v_mov_b32_e32 v4, s1
	v_add_co_u32_e32 v2, vcc, s0, v2
	v_lshlrev_b32_e32 v1, 5, v1
	v_addc_co_u32_e32 v3, vcc, v4, v3, vcc
	v_and_b32_e32 v1, 0x3e0, v1
	v_add_co_u32_e32 v12, vcc, v2, v1
	v_addc_co_u32_e32 v13, vcc, 0, v3, vcc
	global_load_dwordx4 v[2:5], v[12:13], off
	global_load_dwordx4 v[6:9], v[12:13], off offset:16
	v_or_b32_e32 v10, s4, v0
	v_lshlrev_b64 v[16:17], 2, v[10:11]
	v_mov_b32_e32 v1, v11
	v_or_b32_e32 v0, 0x400, v10
	v_mov_b32_e32 v18, s3
	v_add_co_u32_e32 v16, vcc, s2, v16
	v_lshlrev_b64 v[0:1], 2, v[0:1]
	v_addc_co_u32_e32 v17, vcc, v18, v17, vcc
	v_mov_b32_e32 v13, v11
	v_or_b32_e32 v12, 0x500, v10
	v_mov_b32_e32 v19, s3
	v_add_co_u32_e32 v0, vcc, s2, v0
	v_lshlrev_b64 v[12:13], 2, v[12:13]
	v_addc_co_u32_e32 v1, vcc, v19, v1, vcc
	;; [unrolled: 6-line block ×3, first 2 shown]
	v_or_b32_e32 v10, 0x700, v10
	v_mov_b32_e32 v21, s3
	v_add_co_u32_e32 v14, vcc, s2, v14
	v_lshlrev_b64 v[10:11], 2, v[10:11]
	v_addc_co_u32_e32 v15, vcc, v21, v15, vcc
	v_mov_b32_e32 v22, s3
	v_add_co_u32_e32 v10, vcc, s2, v10
	v_addc_co_u32_e32 v11, vcc, v22, v11, vcc
	s_waitcnt vmcnt(1)
	global_store_dword v[16:17], v2, off
	global_store_dword v[16:17], v3, off offset:1024
	global_store_dword v[16:17], v4, off offset:2048
	;; [unrolled: 1-line block ×3, first 2 shown]
	s_waitcnt vmcnt(4)
	global_store_dword v[0:1], v6, off
	global_store_dword v[12:13], v7, off
	;; [unrolled: 1-line block ×4, first 2 shown]
	s_endpgm
	.section	.rodata,"a",@progbits
	.p2align	6, 0x0
	.amdhsa_kernel _Z16warp_load_kernelILj256ELj8ELj32ELN6hipcub17WarpLoadAlgorithmE0EiEvPT3_S3_
		.amdhsa_group_segment_fixed_size 0
		.amdhsa_private_segment_fixed_size 0
		.amdhsa_kernarg_size 16
		.amdhsa_user_sgpr_count 6
		.amdhsa_user_sgpr_private_segment_buffer 1
		.amdhsa_user_sgpr_dispatch_ptr 0
		.amdhsa_user_sgpr_queue_ptr 0
		.amdhsa_user_sgpr_kernarg_segment_ptr 1
		.amdhsa_user_sgpr_dispatch_id 0
		.amdhsa_user_sgpr_flat_scratch_init 0
		.amdhsa_user_sgpr_kernarg_preload_length 0
		.amdhsa_user_sgpr_kernarg_preload_offset 0
		.amdhsa_user_sgpr_private_segment_size 0
		.amdhsa_uses_dynamic_stack 0
		.amdhsa_system_sgpr_private_segment_wavefront_offset 0
		.amdhsa_system_sgpr_workgroup_id_x 1
		.amdhsa_system_sgpr_workgroup_id_y 0
		.amdhsa_system_sgpr_workgroup_id_z 0
		.amdhsa_system_sgpr_workgroup_info 0
		.amdhsa_system_vgpr_workitem_id 0
		.amdhsa_next_free_vgpr 23
		.amdhsa_next_free_sgpr 7
		.amdhsa_accum_offset 24
		.amdhsa_reserve_vcc 1
		.amdhsa_reserve_flat_scratch 0
		.amdhsa_float_round_mode_32 0
		.amdhsa_float_round_mode_16_64 0
		.amdhsa_float_denorm_mode_32 3
		.amdhsa_float_denorm_mode_16_64 3
		.amdhsa_dx10_clamp 1
		.amdhsa_ieee_mode 1
		.amdhsa_fp16_overflow 0
		.amdhsa_tg_split 0
		.amdhsa_exception_fp_ieee_invalid_op 0
		.amdhsa_exception_fp_denorm_src 0
		.amdhsa_exception_fp_ieee_div_zero 0
		.amdhsa_exception_fp_ieee_overflow 0
		.amdhsa_exception_fp_ieee_underflow 0
		.amdhsa_exception_fp_ieee_inexact 0
		.amdhsa_exception_int_div_zero 0
	.end_amdhsa_kernel
	.section	.text._Z16warp_load_kernelILj256ELj8ELj32ELN6hipcub17WarpLoadAlgorithmE0EiEvPT3_S3_,"axG",@progbits,_Z16warp_load_kernelILj256ELj8ELj32ELN6hipcub17WarpLoadAlgorithmE0EiEvPT3_S3_,comdat
.Lfunc_end4:
	.size	_Z16warp_load_kernelILj256ELj8ELj32ELN6hipcub17WarpLoadAlgorithmE0EiEvPT3_S3_, .Lfunc_end4-_Z16warp_load_kernelILj256ELj8ELj32ELN6hipcub17WarpLoadAlgorithmE0EiEvPT3_S3_
                                        ; -- End function
	.section	.AMDGPU.csdata,"",@progbits
; Kernel info:
; codeLenInByte = 332
; NumSgprs: 11
; NumVgprs: 23
; NumAgprs: 0
; TotalNumVgprs: 23
; ScratchSize: 0
; MemoryBound: 0
; FloatMode: 240
; IeeeMode: 1
; LDSByteSize: 0 bytes/workgroup (compile time only)
; SGPRBlocks: 1
; VGPRBlocks: 2
; NumSGPRsForWavesPerEU: 11
; NumVGPRsForWavesPerEU: 23
; AccumOffset: 24
; Occupancy: 8
; WaveLimiterHint : 1
; COMPUTE_PGM_RSRC2:SCRATCH_EN: 0
; COMPUTE_PGM_RSRC2:USER_SGPR: 6
; COMPUTE_PGM_RSRC2:TRAP_HANDLER: 0
; COMPUTE_PGM_RSRC2:TGID_X_EN: 1
; COMPUTE_PGM_RSRC2:TGID_Y_EN: 0
; COMPUTE_PGM_RSRC2:TGID_Z_EN: 0
; COMPUTE_PGM_RSRC2:TIDIG_COMP_CNT: 0
; COMPUTE_PGM_RSRC3_GFX90A:ACCUM_OFFSET: 5
; COMPUTE_PGM_RSRC3_GFX90A:TG_SPLIT: 0
	.section	.text._Z16warp_load_kernelILj256ELj8ELj32ELN6hipcub17WarpLoadAlgorithmE1EiEvPT3_S3_,"axG",@progbits,_Z16warp_load_kernelILj256ELj8ELj32ELN6hipcub17WarpLoadAlgorithmE1EiEvPT3_S3_,comdat
	.protected	_Z16warp_load_kernelILj256ELj8ELj32ELN6hipcub17WarpLoadAlgorithmE1EiEvPT3_S3_ ; -- Begin function _Z16warp_load_kernelILj256ELj8ELj32ELN6hipcub17WarpLoadAlgorithmE1EiEvPT3_S3_
	.globl	_Z16warp_load_kernelILj256ELj8ELj32ELN6hipcub17WarpLoadAlgorithmE1EiEvPT3_S3_
	.p2align	8
	.type	_Z16warp_load_kernelILj256ELj8ELj32ELN6hipcub17WarpLoadAlgorithmE1EiEvPT3_S3_,@function
_Z16warp_load_kernelILj256ELj8ELj32ELN6hipcub17WarpLoadAlgorithmE1EiEvPT3_S3_: ; @_Z16warp_load_kernelILj256ELj8ELj32ELN6hipcub17WarpLoadAlgorithmE1EiEvPT3_S3_
; %bb.0:
	s_load_dwordx4 s[0:3], s[4:5], 0x0
	v_lshlrev_b32_e32 v2, 3, v0
	s_lshl_b32 s4, s6, 11
	v_and_b32_e32 v2, 0x700, v2
	v_mbcnt_lo_u32_b32 v1, -1, 0
	v_or_b32_e32 v2, s4, v2
	v_mov_b32_e32 v3, 0
	v_mbcnt_hi_u32_b32 v1, -1, v1
	v_lshlrev_b64 v[4:5], 2, v[2:3]
	v_and_b32_e32 v1, 31, v1
	s_waitcnt lgkmcnt(0)
	v_mov_b32_e32 v2, s1
	v_add_co_u32_e32 v4, vcc, s0, v4
	v_addc_co_u32_e32 v2, vcc, v2, v5, vcc
	v_lshlrev_b32_e32 v1, 2, v1
	v_add_co_u32_e32 v4, vcc, v4, v1
	v_addc_co_u32_e32 v5, vcc, 0, v2, vcc
	global_load_dword v10, v[4:5], off
	global_load_dword v11, v[4:5], off offset:128
	global_load_dword v12, v[4:5], off offset:256
	;; [unrolled: 1-line block ×7, first 2 shown]
	v_or_b32_e32 v2, s4, v0
	v_lshlrev_b64 v[8:9], 2, v[2:3]
	v_mov_b32_e32 v1, v3
	v_or_b32_e32 v0, 0x400, v2
	v_mov_b32_e32 v18, s3
	v_add_co_u32_e32 v8, vcc, s2, v8
	v_lshlrev_b64 v[0:1], 2, v[0:1]
	v_addc_co_u32_e32 v9, vcc, v18, v9, vcc
	v_mov_b32_e32 v5, v3
	v_or_b32_e32 v4, 0x500, v2
	v_mov_b32_e32 v19, s3
	v_add_co_u32_e32 v0, vcc, s2, v0
	v_lshlrev_b64 v[4:5], 2, v[4:5]
	v_addc_co_u32_e32 v1, vcc, v19, v1, vcc
	v_mov_b32_e32 v7, v3
	v_or_b32_e32 v6, 0x600, v2
	v_mov_b32_e32 v20, s3
	v_add_co_u32_e32 v4, vcc, s2, v4
	v_lshlrev_b64 v[6:7], 2, v[6:7]
	v_addc_co_u32_e32 v5, vcc, v20, v5, vcc
	v_or_b32_e32 v2, 0x700, v2
	v_mov_b32_e32 v21, s3
	v_add_co_u32_e32 v6, vcc, s2, v6
	v_lshlrev_b64 v[2:3], 2, v[2:3]
	v_addc_co_u32_e32 v7, vcc, v21, v7, vcc
	v_mov_b32_e32 v22, s3
	v_add_co_u32_e32 v2, vcc, s2, v2
	v_addc_co_u32_e32 v3, vcc, v22, v3, vcc
	s_waitcnt vmcnt(7)
	global_store_dword v[8:9], v10, off
	s_waitcnt vmcnt(7)
	global_store_dword v[8:9], v11, off offset:1024
	s_waitcnt vmcnt(7)
	global_store_dword v[8:9], v12, off offset:2048
	;; [unrolled: 2-line block ×3, first 2 shown]
	s_waitcnt vmcnt(7)
	global_store_dword v[0:1], v14, off
	s_waitcnt vmcnt(7)
	global_store_dword v[4:5], v15, off
	;; [unrolled: 2-line block ×4, first 2 shown]
	s_endpgm
	.section	.rodata,"a",@progbits
	.p2align	6, 0x0
	.amdhsa_kernel _Z16warp_load_kernelILj256ELj8ELj32ELN6hipcub17WarpLoadAlgorithmE1EiEvPT3_S3_
		.amdhsa_group_segment_fixed_size 0
		.amdhsa_private_segment_fixed_size 0
		.amdhsa_kernarg_size 16
		.amdhsa_user_sgpr_count 6
		.amdhsa_user_sgpr_private_segment_buffer 1
		.amdhsa_user_sgpr_dispatch_ptr 0
		.amdhsa_user_sgpr_queue_ptr 0
		.amdhsa_user_sgpr_kernarg_segment_ptr 1
		.amdhsa_user_sgpr_dispatch_id 0
		.amdhsa_user_sgpr_flat_scratch_init 0
		.amdhsa_user_sgpr_kernarg_preload_length 0
		.amdhsa_user_sgpr_kernarg_preload_offset 0
		.amdhsa_user_sgpr_private_segment_size 0
		.amdhsa_uses_dynamic_stack 0
		.amdhsa_system_sgpr_private_segment_wavefront_offset 0
		.amdhsa_system_sgpr_workgroup_id_x 1
		.amdhsa_system_sgpr_workgroup_id_y 0
		.amdhsa_system_sgpr_workgroup_id_z 0
		.amdhsa_system_sgpr_workgroup_info 0
		.amdhsa_system_vgpr_workitem_id 0
		.amdhsa_next_free_vgpr 23
		.amdhsa_next_free_sgpr 7
		.amdhsa_accum_offset 24
		.amdhsa_reserve_vcc 1
		.amdhsa_reserve_flat_scratch 0
		.amdhsa_float_round_mode_32 0
		.amdhsa_float_round_mode_16_64 0
		.amdhsa_float_denorm_mode_32 3
		.amdhsa_float_denorm_mode_16_64 3
		.amdhsa_dx10_clamp 1
		.amdhsa_ieee_mode 1
		.amdhsa_fp16_overflow 0
		.amdhsa_tg_split 0
		.amdhsa_exception_fp_ieee_invalid_op 0
		.amdhsa_exception_fp_denorm_src 0
		.amdhsa_exception_fp_ieee_div_zero 0
		.amdhsa_exception_fp_ieee_overflow 0
		.amdhsa_exception_fp_ieee_underflow 0
		.amdhsa_exception_fp_ieee_inexact 0
		.amdhsa_exception_int_div_zero 0
	.end_amdhsa_kernel
	.section	.text._Z16warp_load_kernelILj256ELj8ELj32ELN6hipcub17WarpLoadAlgorithmE1EiEvPT3_S3_,"axG",@progbits,_Z16warp_load_kernelILj256ELj8ELj32ELN6hipcub17WarpLoadAlgorithmE1EiEvPT3_S3_,comdat
.Lfunc_end5:
	.size	_Z16warp_load_kernelILj256ELj8ELj32ELN6hipcub17WarpLoadAlgorithmE1EiEvPT3_S3_, .Lfunc_end5-_Z16warp_load_kernelILj256ELj8ELj32ELN6hipcub17WarpLoadAlgorithmE1EiEvPT3_S3_
                                        ; -- End function
	.section	.AMDGPU.csdata,"",@progbits
; Kernel info:
; codeLenInByte = 400
; NumSgprs: 11
; NumVgprs: 23
; NumAgprs: 0
; TotalNumVgprs: 23
; ScratchSize: 0
; MemoryBound: 0
; FloatMode: 240
; IeeeMode: 1
; LDSByteSize: 0 bytes/workgroup (compile time only)
; SGPRBlocks: 1
; VGPRBlocks: 2
; NumSGPRsForWavesPerEU: 11
; NumVGPRsForWavesPerEU: 23
; AccumOffset: 24
; Occupancy: 8
; WaveLimiterHint : 1
; COMPUTE_PGM_RSRC2:SCRATCH_EN: 0
; COMPUTE_PGM_RSRC2:USER_SGPR: 6
; COMPUTE_PGM_RSRC2:TRAP_HANDLER: 0
; COMPUTE_PGM_RSRC2:TGID_X_EN: 1
; COMPUTE_PGM_RSRC2:TGID_Y_EN: 0
; COMPUTE_PGM_RSRC2:TGID_Z_EN: 0
; COMPUTE_PGM_RSRC2:TIDIG_COMP_CNT: 0
; COMPUTE_PGM_RSRC3_GFX90A:ACCUM_OFFSET: 5
; COMPUTE_PGM_RSRC3_GFX90A:TG_SPLIT: 0
	.section	.text._Z16warp_load_kernelILj256ELj8ELj32ELN6hipcub17WarpLoadAlgorithmE2EiEvPT3_S3_,"axG",@progbits,_Z16warp_load_kernelILj256ELj8ELj32ELN6hipcub17WarpLoadAlgorithmE2EiEvPT3_S3_,comdat
	.protected	_Z16warp_load_kernelILj256ELj8ELj32ELN6hipcub17WarpLoadAlgorithmE2EiEvPT3_S3_ ; -- Begin function _Z16warp_load_kernelILj256ELj8ELj32ELN6hipcub17WarpLoadAlgorithmE2EiEvPT3_S3_
	.globl	_Z16warp_load_kernelILj256ELj8ELj32ELN6hipcub17WarpLoadAlgorithmE2EiEvPT3_S3_
	.p2align	8
	.type	_Z16warp_load_kernelILj256ELj8ELj32ELN6hipcub17WarpLoadAlgorithmE2EiEvPT3_S3_,@function
_Z16warp_load_kernelILj256ELj8ELj32ELN6hipcub17WarpLoadAlgorithmE2EiEvPT3_S3_: ; @_Z16warp_load_kernelILj256ELj8ELj32ELN6hipcub17WarpLoadAlgorithmE2EiEvPT3_S3_
; %bb.0:
	s_load_dwordx4 s[0:3], s[4:5], 0x0
	v_lshlrev_b32_e32 v2, 3, v0
	s_lshl_b32 s4, s6, 11
	v_and_b32_e32 v2, 0x700, v2
	v_mbcnt_lo_u32_b32 v1, -1, 0
	v_or_b32_e32 v10, s4, v2
	v_mov_b32_e32 v11, 0
	v_mbcnt_hi_u32_b32 v1, -1, v1
	v_lshlrev_b64 v[2:3], 2, v[10:11]
	s_waitcnt lgkmcnt(0)
	v_mov_b32_e32 v4, s1
	v_add_co_u32_e32 v2, vcc, s0, v2
	v_lshlrev_b32_e32 v1, 5, v1
	v_addc_co_u32_e32 v3, vcc, v4, v3, vcc
	v_and_b32_e32 v1, 0x3e0, v1
	v_add_co_u32_e32 v12, vcc, v2, v1
	v_addc_co_u32_e32 v13, vcc, 0, v3, vcc
	global_load_dwordx4 v[2:5], v[12:13], off
	global_load_dwordx4 v[6:9], v[12:13], off offset:16
	v_or_b32_e32 v10, s4, v0
	v_lshlrev_b64 v[16:17], 2, v[10:11]
	v_mov_b32_e32 v1, v11
	v_or_b32_e32 v0, 0x400, v10
	v_mov_b32_e32 v18, s3
	v_add_co_u32_e32 v16, vcc, s2, v16
	v_lshlrev_b64 v[0:1], 2, v[0:1]
	v_addc_co_u32_e32 v17, vcc, v18, v17, vcc
	v_mov_b32_e32 v13, v11
	v_or_b32_e32 v12, 0x500, v10
	v_mov_b32_e32 v19, s3
	v_add_co_u32_e32 v0, vcc, s2, v0
	v_lshlrev_b64 v[12:13], 2, v[12:13]
	v_addc_co_u32_e32 v1, vcc, v19, v1, vcc
	;; [unrolled: 6-line block ×3, first 2 shown]
	v_or_b32_e32 v10, 0x700, v10
	v_mov_b32_e32 v21, s3
	v_add_co_u32_e32 v14, vcc, s2, v14
	v_lshlrev_b64 v[10:11], 2, v[10:11]
	v_addc_co_u32_e32 v15, vcc, v21, v15, vcc
	v_mov_b32_e32 v22, s3
	v_add_co_u32_e32 v10, vcc, s2, v10
	v_addc_co_u32_e32 v11, vcc, v22, v11, vcc
	s_waitcnt vmcnt(1)
	global_store_dword v[16:17], v2, off
	global_store_dword v[16:17], v3, off offset:1024
	global_store_dword v[16:17], v4, off offset:2048
	;; [unrolled: 1-line block ×3, first 2 shown]
	s_waitcnt vmcnt(4)
	global_store_dword v[0:1], v6, off
	global_store_dword v[12:13], v7, off
	;; [unrolled: 1-line block ×4, first 2 shown]
	s_endpgm
	.section	.rodata,"a",@progbits
	.p2align	6, 0x0
	.amdhsa_kernel _Z16warp_load_kernelILj256ELj8ELj32ELN6hipcub17WarpLoadAlgorithmE2EiEvPT3_S3_
		.amdhsa_group_segment_fixed_size 0
		.amdhsa_private_segment_fixed_size 0
		.amdhsa_kernarg_size 16
		.amdhsa_user_sgpr_count 6
		.amdhsa_user_sgpr_private_segment_buffer 1
		.amdhsa_user_sgpr_dispatch_ptr 0
		.amdhsa_user_sgpr_queue_ptr 0
		.amdhsa_user_sgpr_kernarg_segment_ptr 1
		.amdhsa_user_sgpr_dispatch_id 0
		.amdhsa_user_sgpr_flat_scratch_init 0
		.amdhsa_user_sgpr_kernarg_preload_length 0
		.amdhsa_user_sgpr_kernarg_preload_offset 0
		.amdhsa_user_sgpr_private_segment_size 0
		.amdhsa_uses_dynamic_stack 0
		.amdhsa_system_sgpr_private_segment_wavefront_offset 0
		.amdhsa_system_sgpr_workgroup_id_x 1
		.amdhsa_system_sgpr_workgroup_id_y 0
		.amdhsa_system_sgpr_workgroup_id_z 0
		.amdhsa_system_sgpr_workgroup_info 0
		.amdhsa_system_vgpr_workitem_id 0
		.amdhsa_next_free_vgpr 23
		.amdhsa_next_free_sgpr 7
		.amdhsa_accum_offset 24
		.amdhsa_reserve_vcc 1
		.amdhsa_reserve_flat_scratch 0
		.amdhsa_float_round_mode_32 0
		.amdhsa_float_round_mode_16_64 0
		.amdhsa_float_denorm_mode_32 3
		.amdhsa_float_denorm_mode_16_64 3
		.amdhsa_dx10_clamp 1
		.amdhsa_ieee_mode 1
		.amdhsa_fp16_overflow 0
		.amdhsa_tg_split 0
		.amdhsa_exception_fp_ieee_invalid_op 0
		.amdhsa_exception_fp_denorm_src 0
		.amdhsa_exception_fp_ieee_div_zero 0
		.amdhsa_exception_fp_ieee_overflow 0
		.amdhsa_exception_fp_ieee_underflow 0
		.amdhsa_exception_fp_ieee_inexact 0
		.amdhsa_exception_int_div_zero 0
	.end_amdhsa_kernel
	.section	.text._Z16warp_load_kernelILj256ELj8ELj32ELN6hipcub17WarpLoadAlgorithmE2EiEvPT3_S3_,"axG",@progbits,_Z16warp_load_kernelILj256ELj8ELj32ELN6hipcub17WarpLoadAlgorithmE2EiEvPT3_S3_,comdat
.Lfunc_end6:
	.size	_Z16warp_load_kernelILj256ELj8ELj32ELN6hipcub17WarpLoadAlgorithmE2EiEvPT3_S3_, .Lfunc_end6-_Z16warp_load_kernelILj256ELj8ELj32ELN6hipcub17WarpLoadAlgorithmE2EiEvPT3_S3_
                                        ; -- End function
	.section	.AMDGPU.csdata,"",@progbits
; Kernel info:
; codeLenInByte = 332
; NumSgprs: 11
; NumVgprs: 23
; NumAgprs: 0
; TotalNumVgprs: 23
; ScratchSize: 0
; MemoryBound: 0
; FloatMode: 240
; IeeeMode: 1
; LDSByteSize: 0 bytes/workgroup (compile time only)
; SGPRBlocks: 1
; VGPRBlocks: 2
; NumSGPRsForWavesPerEU: 11
; NumVGPRsForWavesPerEU: 23
; AccumOffset: 24
; Occupancy: 8
; WaveLimiterHint : 1
; COMPUTE_PGM_RSRC2:SCRATCH_EN: 0
; COMPUTE_PGM_RSRC2:USER_SGPR: 6
; COMPUTE_PGM_RSRC2:TRAP_HANDLER: 0
; COMPUTE_PGM_RSRC2:TGID_X_EN: 1
; COMPUTE_PGM_RSRC2:TGID_Y_EN: 0
; COMPUTE_PGM_RSRC2:TGID_Z_EN: 0
; COMPUTE_PGM_RSRC2:TIDIG_COMP_CNT: 0
; COMPUTE_PGM_RSRC3_GFX90A:ACCUM_OFFSET: 5
; COMPUTE_PGM_RSRC3_GFX90A:TG_SPLIT: 0
	.section	.text._Z16warp_load_kernelILj256ELj8ELj32ELN6hipcub17WarpLoadAlgorithmE3EiEvPT3_S3_,"axG",@progbits,_Z16warp_load_kernelILj256ELj8ELj32ELN6hipcub17WarpLoadAlgorithmE3EiEvPT3_S3_,comdat
	.protected	_Z16warp_load_kernelILj256ELj8ELj32ELN6hipcub17WarpLoadAlgorithmE3EiEvPT3_S3_ ; -- Begin function _Z16warp_load_kernelILj256ELj8ELj32ELN6hipcub17WarpLoadAlgorithmE3EiEvPT3_S3_
	.globl	_Z16warp_load_kernelILj256ELj8ELj32ELN6hipcub17WarpLoadAlgorithmE3EiEvPT3_S3_
	.p2align	8
	.type	_Z16warp_load_kernelILj256ELj8ELj32ELN6hipcub17WarpLoadAlgorithmE3EiEvPT3_S3_,@function
_Z16warp_load_kernelILj256ELj8ELj32ELN6hipcub17WarpLoadAlgorithmE3EiEvPT3_S3_: ; @_Z16warp_load_kernelILj256ELj8ELj32ELN6hipcub17WarpLoadAlgorithmE3EiEvPT3_S3_
; %bb.0:
	s_load_dwordx4 s[0:3], s[4:5], 0x0
	v_lshrrev_b32_e32 v6, 5, v0
	s_lshl_b32 s4, s6, 11
	v_mbcnt_lo_u32_b32 v1, -1, 0
	v_lshl_or_b32 v2, v6, 8, s4
	v_mov_b32_e32 v3, 0
	v_mbcnt_hi_u32_b32 v1, -1, v1
	v_lshlrev_b64 v[4:5], 2, v[2:3]
	v_and_b32_e32 v10, 31, v1
	s_waitcnt lgkmcnt(0)
	v_mov_b32_e32 v1, s1
	v_add_co_u32_e32 v2, vcc, s0, v4
	v_addc_co_u32_e32 v1, vcc, v1, v5, vcc
	v_lshlrev_b32_e32 v8, 2, v10
	v_add_co_u32_e32 v4, vcc, v2, v8
	v_addc_co_u32_e32 v5, vcc, 0, v1, vcc
	global_load_dword v18, v[4:5], off
	global_load_dword v19, v[4:5], off offset:128
	global_load_dword v20, v[4:5], off offset:256
	global_load_dword v21, v[4:5], off offset:384
	global_load_dword v22, v[4:5], off offset:512
	global_load_dword v23, v[4:5], off offset:640
	global_load_dword v24, v[4:5], off offset:768
	global_load_dword v25, v[4:5], off offset:896
	v_or_b32_e32 v2, s4, v0
	v_lshl_or_b32 v26, v6, 10, v8
	v_lshlrev_b64 v[8:9], 2, v[2:3]
	v_or_b32_e32 v0, 0x400, v2
	v_or_b32_e32 v4, 0x500, v2
	;; [unrolled: 1-line block ×4, first 2 shown]
	v_mov_b32_e32 v1, v3
	v_mad_u32_u24 v27, v10, 28, v26
	v_lshlrev_b64 v[10:11], 2, v[2:3]
	v_mov_b32_e32 v2, s3
	v_add_co_u32_e32 v8, vcc, s2, v8
	v_lshlrev_b64 v[0:1], 2, v[0:1]
	v_addc_co_u32_e32 v9, vcc, v2, v9, vcc
	v_mov_b32_e32 v5, v3
	v_mov_b32_e32 v7, v3
	;; [unrolled: 1-line block ×3, first 2 shown]
	v_add_co_u32_e32 v12, vcc, s2, v0
	v_lshlrev_b64 v[4:5], 2, v[4:5]
	v_addc_co_u32_e32 v13, vcc, v3, v1, vcc
	v_mov_b32_e32 v15, s3
	v_add_co_u32_e32 v14, vcc, s2, v4
	v_lshlrev_b64 v[6:7], 2, v[6:7]
	v_addc_co_u32_e32 v15, vcc, v15, v5, vcc
	v_mov_b32_e32 v17, s3
	v_add_co_u32_e32 v16, vcc, s2, v6
	v_addc_co_u32_e32 v17, vcc, v17, v7, vcc
	v_mov_b32_e32 v28, s3
	v_add_co_u32_e32 v10, vcc, s2, v10
	v_addc_co_u32_e32 v11, vcc, v28, v11, vcc
	s_waitcnt vmcnt(6)
	ds_write2_b32 v26, v18, v19 offset1:32
	s_waitcnt vmcnt(4)
	ds_write2_b32 v26, v20, v21 offset0:64 offset1:96
	s_waitcnt vmcnt(2)
	ds_write2_b32 v26, v22, v23 offset0:128 offset1:160
	;; [unrolled: 2-line block ×3, first 2 shown]
	; wave barrier
	ds_read_b128 v[0:3], v27
	ds_read_b128 v[4:7], v27 offset:16
	s_waitcnt lgkmcnt(1)
	global_store_dword v[8:9], v0, off
	global_store_dword v[8:9], v1, off offset:1024
	global_store_dword v[8:9], v2, off offset:2048
	;; [unrolled: 1-line block ×3, first 2 shown]
	s_waitcnt lgkmcnt(0)
	global_store_dword v[12:13], v4, off
	global_store_dword v[14:15], v5, off
	;; [unrolled: 1-line block ×4, first 2 shown]
	s_endpgm
	.section	.rodata,"a",@progbits
	.p2align	6, 0x0
	.amdhsa_kernel _Z16warp_load_kernelILj256ELj8ELj32ELN6hipcub17WarpLoadAlgorithmE3EiEvPT3_S3_
		.amdhsa_group_segment_fixed_size 8192
		.amdhsa_private_segment_fixed_size 0
		.amdhsa_kernarg_size 16
		.amdhsa_user_sgpr_count 6
		.amdhsa_user_sgpr_private_segment_buffer 1
		.amdhsa_user_sgpr_dispatch_ptr 0
		.amdhsa_user_sgpr_queue_ptr 0
		.amdhsa_user_sgpr_kernarg_segment_ptr 1
		.amdhsa_user_sgpr_dispatch_id 0
		.amdhsa_user_sgpr_flat_scratch_init 0
		.amdhsa_user_sgpr_kernarg_preload_length 0
		.amdhsa_user_sgpr_kernarg_preload_offset 0
		.amdhsa_user_sgpr_private_segment_size 0
		.amdhsa_uses_dynamic_stack 0
		.amdhsa_system_sgpr_private_segment_wavefront_offset 0
		.amdhsa_system_sgpr_workgroup_id_x 1
		.amdhsa_system_sgpr_workgroup_id_y 0
		.amdhsa_system_sgpr_workgroup_id_z 0
		.amdhsa_system_sgpr_workgroup_info 0
		.amdhsa_system_vgpr_workitem_id 0
		.amdhsa_next_free_vgpr 29
		.amdhsa_next_free_sgpr 7
		.amdhsa_accum_offset 32
		.amdhsa_reserve_vcc 1
		.amdhsa_reserve_flat_scratch 0
		.amdhsa_float_round_mode_32 0
		.amdhsa_float_round_mode_16_64 0
		.amdhsa_float_denorm_mode_32 3
		.amdhsa_float_denorm_mode_16_64 3
		.amdhsa_dx10_clamp 1
		.amdhsa_ieee_mode 1
		.amdhsa_fp16_overflow 0
		.amdhsa_tg_split 0
		.amdhsa_exception_fp_ieee_invalid_op 0
		.amdhsa_exception_fp_denorm_src 0
		.amdhsa_exception_fp_ieee_div_zero 0
		.amdhsa_exception_fp_ieee_overflow 0
		.amdhsa_exception_fp_ieee_underflow 0
		.amdhsa_exception_fp_ieee_inexact 0
		.amdhsa_exception_int_div_zero 0
	.end_amdhsa_kernel
	.section	.text._Z16warp_load_kernelILj256ELj8ELj32ELN6hipcub17WarpLoadAlgorithmE3EiEvPT3_S3_,"axG",@progbits,_Z16warp_load_kernelILj256ELj8ELj32ELN6hipcub17WarpLoadAlgorithmE3EiEvPT3_S3_,comdat
.Lfunc_end7:
	.size	_Z16warp_load_kernelILj256ELj8ELj32ELN6hipcub17WarpLoadAlgorithmE3EiEvPT3_S3_, .Lfunc_end7-_Z16warp_load_kernelILj256ELj8ELj32ELN6hipcub17WarpLoadAlgorithmE3EiEvPT3_S3_
                                        ; -- End function
	.section	.AMDGPU.csdata,"",@progbits
; Kernel info:
; codeLenInByte = 452
; NumSgprs: 11
; NumVgprs: 29
; NumAgprs: 0
; TotalNumVgprs: 29
; ScratchSize: 0
; MemoryBound: 0
; FloatMode: 240
; IeeeMode: 1
; LDSByteSize: 8192 bytes/workgroup (compile time only)
; SGPRBlocks: 1
; VGPRBlocks: 3
; NumSGPRsForWavesPerEU: 11
; NumVGPRsForWavesPerEU: 29
; AccumOffset: 32
; Occupancy: 8
; WaveLimiterHint : 1
; COMPUTE_PGM_RSRC2:SCRATCH_EN: 0
; COMPUTE_PGM_RSRC2:USER_SGPR: 6
; COMPUTE_PGM_RSRC2:TRAP_HANDLER: 0
; COMPUTE_PGM_RSRC2:TGID_X_EN: 1
; COMPUTE_PGM_RSRC2:TGID_Y_EN: 0
; COMPUTE_PGM_RSRC2:TGID_Z_EN: 0
; COMPUTE_PGM_RSRC2:TIDIG_COMP_CNT: 0
; COMPUTE_PGM_RSRC3_GFX90A:ACCUM_OFFSET: 7
; COMPUTE_PGM_RSRC3_GFX90A:TG_SPLIT: 0
	.section	.text._Z16warp_load_kernelILj256ELj16ELj32ELN6hipcub17WarpLoadAlgorithmE0EiEvPT3_S3_,"axG",@progbits,_Z16warp_load_kernelILj256ELj16ELj32ELN6hipcub17WarpLoadAlgorithmE0EiEvPT3_S3_,comdat
	.protected	_Z16warp_load_kernelILj256ELj16ELj32ELN6hipcub17WarpLoadAlgorithmE0EiEvPT3_S3_ ; -- Begin function _Z16warp_load_kernelILj256ELj16ELj32ELN6hipcub17WarpLoadAlgorithmE0EiEvPT3_S3_
	.globl	_Z16warp_load_kernelILj256ELj16ELj32ELN6hipcub17WarpLoadAlgorithmE0EiEvPT3_S3_
	.p2align	8
	.type	_Z16warp_load_kernelILj256ELj16ELj32ELN6hipcub17WarpLoadAlgorithmE0EiEvPT3_S3_,@function
_Z16warp_load_kernelILj256ELj16ELj32ELN6hipcub17WarpLoadAlgorithmE0EiEvPT3_S3_: ; @_Z16warp_load_kernelILj256ELj16ELj32ELN6hipcub17WarpLoadAlgorithmE0EiEvPT3_S3_
; %bb.0:
	s_load_dwordx4 s[0:3], s[4:5], 0x0
	v_lshlrev_b32_e32 v2, 4, v0
	s_lshl_b32 s4, s6, 12
	v_and_b32_e32 v2, 0xe00, v2
	v_mbcnt_lo_u32_b32 v1, -1, 0
	v_or_b32_e32 v18, s4, v2
	v_mov_b32_e32 v19, 0
	v_mbcnt_hi_u32_b32 v1, -1, v1
	v_lshlrev_b64 v[2:3], 2, v[18:19]
	s_waitcnt lgkmcnt(0)
	v_mov_b32_e32 v4, s1
	v_add_co_u32_e32 v2, vcc, s0, v2
	v_lshlrev_b32_e32 v1, 6, v1
	v_addc_co_u32_e32 v3, vcc, v4, v3, vcc
	v_and_b32_e32 v1, 0x7c0, v1
	v_add_co_u32_e32 v20, vcc, v2, v1
	v_addc_co_u32_e32 v21, vcc, 0, v3, vcc
	global_load_dwordx4 v[2:5], v[20:21], off
	global_load_dwordx4 v[6:9], v[20:21], off offset:16
	global_load_dwordx4 v[10:13], v[20:21], off offset:32
	;; [unrolled: 1-line block ×3, first 2 shown]
	v_or_b32_e32 v18, s4, v0
	v_lshlrev_b64 v[30:31], 2, v[18:19]
	v_mov_b32_e32 v1, v19
	v_or_b32_e32 v0, 0x400, v18
	v_mov_b32_e32 v32, s3
	v_add_co_u32_e32 v30, vcc, s2, v30
	v_lshlrev_b64 v[0:1], 2, v[0:1]
	v_addc_co_u32_e32 v31, vcc, v32, v31, vcc
	v_mov_b32_e32 v21, v19
	v_or_b32_e32 v20, 0x500, v18
	v_mov_b32_e32 v33, s3
	v_add_co_u32_e32 v0, vcc, s2, v0
	v_lshlrev_b64 v[20:21], 2, v[20:21]
	v_addc_co_u32_e32 v1, vcc, v33, v1, vcc
	;; [unrolled: 6-line block ×6, first 2 shown]
	v_mov_b32_e32 v38, s3
	s_waitcnt vmcnt(3)
	global_store_dword v[30:31], v2, off
	global_store_dword v[30:31], v3, off offset:1024
	global_store_dword v[30:31], v4, off offset:2048
	;; [unrolled: 1-line block ×3, first 2 shown]
	s_waitcnt vmcnt(6)
	global_store_dword v[0:1], v6, off
	global_store_dword v[20:21], v7, off
	;; [unrolled: 1-line block ×4, first 2 shown]
	s_waitcnt vmcnt(9)
	global_store_dword v[26:27], v10, off
	v_add_co_u32_e32 v0, vcc, s2, v28
	v_addc_co_u32_e32 v1, vcc, v38, v29, vcc
	global_store_dword v[0:1], v11, off
	v_or_b32_e32 v0, 0xa00, v18
	v_mov_b32_e32 v1, v19
	v_lshlrev_b64 v[0:1], 2, v[0:1]
	v_mov_b32_e32 v2, s3
	v_add_co_u32_e32 v0, vcc, s2, v0
	v_addc_co_u32_e32 v1, vcc, v2, v1, vcc
	global_store_dword v[0:1], v12, off
	v_or_b32_e32 v0, 0xb00, v18
	v_mov_b32_e32 v1, v19
	v_lshlrev_b64 v[0:1], 2, v[0:1]
	v_add_co_u32_e32 v0, vcc, s2, v0
	v_addc_co_u32_e32 v1, vcc, v2, v1, vcc
	global_store_dword v[0:1], v13, off
	v_or_b32_e32 v0, 0xc00, v18
	v_mov_b32_e32 v1, v19
	v_lshlrev_b64 v[0:1], 2, v[0:1]
	v_add_co_u32_e32 v0, vcc, s2, v0
	v_addc_co_u32_e32 v1, vcc, v2, v1, vcc
	s_waitcnt vmcnt(12)
	global_store_dword v[0:1], v14, off
	v_or_b32_e32 v0, 0xd00, v18
	v_mov_b32_e32 v1, v19
	v_lshlrev_b64 v[0:1], 2, v[0:1]
	v_add_co_u32_e32 v0, vcc, s2, v0
	v_addc_co_u32_e32 v1, vcc, v2, v1, vcc
	global_store_dword v[0:1], v15, off
	v_or_b32_e32 v0, 0xe00, v18
	v_mov_b32_e32 v1, v19
	v_lshlrev_b64 v[0:1], 2, v[0:1]
	v_add_co_u32_e32 v0, vcc, s2, v0
	v_addc_co_u32_e32 v1, vcc, v2, v1, vcc
	v_or_b32_e32 v18, 0xf00, v18
	global_store_dword v[0:1], v16, off
	v_lshlrev_b64 v[0:1], 2, v[18:19]
	v_add_co_u32_e32 v0, vcc, s2, v0
	v_addc_co_u32_e32 v1, vcc, v2, v1, vcc
	global_store_dword v[0:1], v17, off
	s_endpgm
	.section	.rodata,"a",@progbits
	.p2align	6, 0x0
	.amdhsa_kernel _Z16warp_load_kernelILj256ELj16ELj32ELN6hipcub17WarpLoadAlgorithmE0EiEvPT3_S3_
		.amdhsa_group_segment_fixed_size 0
		.amdhsa_private_segment_fixed_size 0
		.amdhsa_kernarg_size 16
		.amdhsa_user_sgpr_count 6
		.amdhsa_user_sgpr_private_segment_buffer 1
		.amdhsa_user_sgpr_dispatch_ptr 0
		.amdhsa_user_sgpr_queue_ptr 0
		.amdhsa_user_sgpr_kernarg_segment_ptr 1
		.amdhsa_user_sgpr_dispatch_id 0
		.amdhsa_user_sgpr_flat_scratch_init 0
		.amdhsa_user_sgpr_kernarg_preload_length 0
		.amdhsa_user_sgpr_kernarg_preload_offset 0
		.amdhsa_user_sgpr_private_segment_size 0
		.amdhsa_uses_dynamic_stack 0
		.amdhsa_system_sgpr_private_segment_wavefront_offset 0
		.amdhsa_system_sgpr_workgroup_id_x 1
		.amdhsa_system_sgpr_workgroup_id_y 0
		.amdhsa_system_sgpr_workgroup_id_z 0
		.amdhsa_system_sgpr_workgroup_info 0
		.amdhsa_system_vgpr_workitem_id 0
		.amdhsa_next_free_vgpr 39
		.amdhsa_next_free_sgpr 7
		.amdhsa_accum_offset 40
		.amdhsa_reserve_vcc 1
		.amdhsa_reserve_flat_scratch 0
		.amdhsa_float_round_mode_32 0
		.amdhsa_float_round_mode_16_64 0
		.amdhsa_float_denorm_mode_32 3
		.amdhsa_float_denorm_mode_16_64 3
		.amdhsa_dx10_clamp 1
		.amdhsa_ieee_mode 1
		.amdhsa_fp16_overflow 0
		.amdhsa_tg_split 0
		.amdhsa_exception_fp_ieee_invalid_op 0
		.amdhsa_exception_fp_denorm_src 0
		.amdhsa_exception_fp_ieee_div_zero 0
		.amdhsa_exception_fp_ieee_overflow 0
		.amdhsa_exception_fp_ieee_underflow 0
		.amdhsa_exception_fp_ieee_inexact 0
		.amdhsa_exception_int_div_zero 0
	.end_amdhsa_kernel
	.section	.text._Z16warp_load_kernelILj256ELj16ELj32ELN6hipcub17WarpLoadAlgorithmE0EiEvPT3_S3_,"axG",@progbits,_Z16warp_load_kernelILj256ELj16ELj32ELN6hipcub17WarpLoadAlgorithmE0EiEvPT3_S3_,comdat
.Lfunc_end8:
	.size	_Z16warp_load_kernelILj256ELj16ELj32ELN6hipcub17WarpLoadAlgorithmE0EiEvPT3_S3_, .Lfunc_end8-_Z16warp_load_kernelILj256ELj16ELj32ELN6hipcub17WarpLoadAlgorithmE0EiEvPT3_S3_
                                        ; -- End function
	.section	.AMDGPU.csdata,"",@progbits
; Kernel info:
; codeLenInByte = 656
; NumSgprs: 11
; NumVgprs: 39
; NumAgprs: 0
; TotalNumVgprs: 39
; ScratchSize: 0
; MemoryBound: 0
; FloatMode: 240
; IeeeMode: 1
; LDSByteSize: 0 bytes/workgroup (compile time only)
; SGPRBlocks: 1
; VGPRBlocks: 4
; NumSGPRsForWavesPerEU: 11
; NumVGPRsForWavesPerEU: 39
; AccumOffset: 40
; Occupancy: 8
; WaveLimiterHint : 1
; COMPUTE_PGM_RSRC2:SCRATCH_EN: 0
; COMPUTE_PGM_RSRC2:USER_SGPR: 6
; COMPUTE_PGM_RSRC2:TRAP_HANDLER: 0
; COMPUTE_PGM_RSRC2:TGID_X_EN: 1
; COMPUTE_PGM_RSRC2:TGID_Y_EN: 0
; COMPUTE_PGM_RSRC2:TGID_Z_EN: 0
; COMPUTE_PGM_RSRC2:TIDIG_COMP_CNT: 0
; COMPUTE_PGM_RSRC3_GFX90A:ACCUM_OFFSET: 9
; COMPUTE_PGM_RSRC3_GFX90A:TG_SPLIT: 0
	.section	.text._Z16warp_load_kernelILj256ELj16ELj32ELN6hipcub17WarpLoadAlgorithmE1EiEvPT3_S3_,"axG",@progbits,_Z16warp_load_kernelILj256ELj16ELj32ELN6hipcub17WarpLoadAlgorithmE1EiEvPT3_S3_,comdat
	.protected	_Z16warp_load_kernelILj256ELj16ELj32ELN6hipcub17WarpLoadAlgorithmE1EiEvPT3_S3_ ; -- Begin function _Z16warp_load_kernelILj256ELj16ELj32ELN6hipcub17WarpLoadAlgorithmE1EiEvPT3_S3_
	.globl	_Z16warp_load_kernelILj256ELj16ELj32ELN6hipcub17WarpLoadAlgorithmE1EiEvPT3_S3_
	.p2align	8
	.type	_Z16warp_load_kernelILj256ELj16ELj32ELN6hipcub17WarpLoadAlgorithmE1EiEvPT3_S3_,@function
_Z16warp_load_kernelILj256ELj16ELj32ELN6hipcub17WarpLoadAlgorithmE1EiEvPT3_S3_: ; @_Z16warp_load_kernelILj256ELj16ELj32ELN6hipcub17WarpLoadAlgorithmE1EiEvPT3_S3_
; %bb.0:
	s_load_dwordx4 s[0:3], s[4:5], 0x0
	v_lshlrev_b32_e32 v2, 4, v0
	s_lshl_b32 s4, s6, 12
	v_and_b32_e32 v2, 0xe00, v2
	v_mbcnt_lo_u32_b32 v1, -1, 0
	v_or_b32_e32 v2, s4, v2
	v_mov_b32_e32 v3, 0
	v_mbcnt_hi_u32_b32 v1, -1, v1
	v_lshlrev_b64 v[4:5], 2, v[2:3]
	v_and_b32_e32 v1, 31, v1
	s_waitcnt lgkmcnt(0)
	v_mov_b32_e32 v2, s1
	v_add_co_u32_e32 v4, vcc, s0, v4
	v_addc_co_u32_e32 v2, vcc, v2, v5, vcc
	v_lshlrev_b32_e32 v1, 2, v1
	v_add_co_u32_e32 v4, vcc, v4, v1
	v_addc_co_u32_e32 v5, vcc, 0, v2, vcc
	global_load_dword v16, v[4:5], off
	global_load_dword v17, v[4:5], off offset:128
	global_load_dword v18, v[4:5], off offset:256
	;; [unrolled: 1-line block ×13, first 2 shown]
	v_or_b32_e32 v2, s4, v0
	v_lshlrev_b64 v[14:15], 2, v[2:3]
	v_mov_b32_e32 v28, s3
	v_add_co_u32_e32 v14, vcc, s2, v14
	v_mov_b32_e32 v1, v3
	v_or_b32_e32 v0, 0x400, v2
	v_addc_co_u32_e32 v15, vcc, v28, v15, vcc
	global_load_dword v28, v[4:5], off offset:1792
	v_lshlrev_b64 v[0:1], 2, v[0:1]
	v_mov_b32_e32 v29, s3
	v_add_co_u32_e32 v0, vcc, s2, v0
	v_addc_co_u32_e32 v1, vcc, v29, v1, vcc
	global_load_dword v29, v[4:5], off offset:1920
	v_mov_b32_e32 v7, v3
	v_or_b32_e32 v6, 0x500, v2
	v_lshlrev_b64 v[6:7], 2, v[6:7]
	v_mov_b32_e32 v9, v3
	v_or_b32_e32 v8, 0x600, v2
	v_mov_b32_e32 v31, s3
	v_add_co_u32_e32 v6, vcc, s2, v6
	v_lshlrev_b64 v[8:9], 2, v[8:9]
	v_addc_co_u32_e32 v7, vcc, v31, v7, vcc
	v_mov_b32_e32 v11, v3
	v_or_b32_e32 v10, 0x700, v2
	v_mov_b32_e32 v32, s3
	v_add_co_u32_e32 v4, vcc, s2, v8
	v_lshlrev_b64 v[10:11], 2, v[10:11]
	v_addc_co_u32_e32 v5, vcc, v32, v9, vcc
	;; [unrolled: 6-line block ×3, first 2 shown]
	v_mov_b32_e32 v34, s3
	s_waitcnt vmcnt(15)
	global_store_dword v[14:15], v16, off
	s_waitcnt vmcnt(15)
	global_store_dword v[14:15], v17, off offset:1024
	s_waitcnt vmcnt(15)
	global_store_dword v[14:15], v18, off offset:2048
	s_waitcnt vmcnt(15)
	global_store_dword v[14:15], v19, off offset:3072
	s_waitcnt vmcnt(15)
	global_store_dword v[0:1], v20, off
	s_waitcnt vmcnt(15)
	global_store_dword v[6:7], v21, off
	;; [unrolled: 2-line block ×4, first 2 shown]
	v_add_co_u32_e32 v0, vcc, s2, v12
	v_addc_co_u32_e32 v1, vcc, v34, v13, vcc
	s_waitcnt vmcnt(15)
	global_store_dword v[0:1], v24, off
	v_or_b32_e32 v0, 0x900, v2
	v_mov_b32_e32 v1, v3
	v_lshlrev_b64 v[0:1], 2, v[0:1]
	v_mov_b32_e32 v4, s3
	v_add_co_u32_e32 v0, vcc, s2, v0
	v_addc_co_u32_e32 v1, vcc, v4, v1, vcc
	s_waitcnt vmcnt(15)
	global_store_dword v[0:1], v25, off
	v_or_b32_e32 v0, 0xa00, v2
	v_mov_b32_e32 v1, v3
	v_lshlrev_b64 v[0:1], 2, v[0:1]
	v_add_co_u32_e32 v0, vcc, s2, v0
	v_addc_co_u32_e32 v1, vcc, v4, v1, vcc
	s_waitcnt vmcnt(15)
	global_store_dword v[0:1], v26, off
	v_or_b32_e32 v0, 0xb00, v2
	v_mov_b32_e32 v1, v3
	v_lshlrev_b64 v[0:1], 2, v[0:1]
	;; [unrolled: 7-line block ×5, first 2 shown]
	v_add_co_u32_e32 v0, vcc, s2, v0
	v_addc_co_u32_e32 v1, vcc, v4, v1, vcc
	v_or_b32_e32 v2, 0xf00, v2
	s_waitcnt vmcnt(15)
	global_store_dword v[0:1], v28, off
	v_lshlrev_b64 v[0:1], 2, v[2:3]
	v_mov_b32_e32 v2, s3
	v_add_co_u32_e32 v0, vcc, s2, v0
	v_addc_co_u32_e32 v1, vcc, v2, v1, vcc
	s_waitcnt vmcnt(15)
	global_store_dword v[0:1], v29, off
	s_endpgm
	.section	.rodata,"a",@progbits
	.p2align	6, 0x0
	.amdhsa_kernel _Z16warp_load_kernelILj256ELj16ELj32ELN6hipcub17WarpLoadAlgorithmE1EiEvPT3_S3_
		.amdhsa_group_segment_fixed_size 0
		.amdhsa_private_segment_fixed_size 0
		.amdhsa_kernarg_size 16
		.amdhsa_user_sgpr_count 6
		.amdhsa_user_sgpr_private_segment_buffer 1
		.amdhsa_user_sgpr_dispatch_ptr 0
		.amdhsa_user_sgpr_queue_ptr 0
		.amdhsa_user_sgpr_kernarg_segment_ptr 1
		.amdhsa_user_sgpr_dispatch_id 0
		.amdhsa_user_sgpr_flat_scratch_init 0
		.amdhsa_user_sgpr_kernarg_preload_length 0
		.amdhsa_user_sgpr_kernarg_preload_offset 0
		.amdhsa_user_sgpr_private_segment_size 0
		.amdhsa_uses_dynamic_stack 0
		.amdhsa_system_sgpr_private_segment_wavefront_offset 0
		.amdhsa_system_sgpr_workgroup_id_x 1
		.amdhsa_system_sgpr_workgroup_id_y 0
		.amdhsa_system_sgpr_workgroup_id_z 0
		.amdhsa_system_sgpr_workgroup_info 0
		.amdhsa_system_vgpr_workitem_id 0
		.amdhsa_next_free_vgpr 36
		.amdhsa_next_free_sgpr 7
		.amdhsa_accum_offset 36
		.amdhsa_reserve_vcc 1
		.amdhsa_reserve_flat_scratch 0
		.amdhsa_float_round_mode_32 0
		.amdhsa_float_round_mode_16_64 0
		.amdhsa_float_denorm_mode_32 3
		.amdhsa_float_denorm_mode_16_64 3
		.amdhsa_dx10_clamp 1
		.amdhsa_ieee_mode 1
		.amdhsa_fp16_overflow 0
		.amdhsa_tg_split 0
		.amdhsa_exception_fp_ieee_invalid_op 0
		.amdhsa_exception_fp_denorm_src 0
		.amdhsa_exception_fp_ieee_div_zero 0
		.amdhsa_exception_fp_ieee_overflow 0
		.amdhsa_exception_fp_ieee_underflow 0
		.amdhsa_exception_fp_ieee_inexact 0
		.amdhsa_exception_int_div_zero 0
	.end_amdhsa_kernel
	.section	.text._Z16warp_load_kernelILj256ELj16ELj32ELN6hipcub17WarpLoadAlgorithmE1EiEvPT3_S3_,"axG",@progbits,_Z16warp_load_kernelILj256ELj16ELj32ELN6hipcub17WarpLoadAlgorithmE1EiEvPT3_S3_,comdat
.Lfunc_end9:
	.size	_Z16warp_load_kernelILj256ELj16ELj32ELN6hipcub17WarpLoadAlgorithmE1EiEvPT3_S3_, .Lfunc_end9-_Z16warp_load_kernelILj256ELj16ELj32ELN6hipcub17WarpLoadAlgorithmE1EiEvPT3_S3_
                                        ; -- End function
	.section	.AMDGPU.csdata,"",@progbits
; Kernel info:
; codeLenInByte = 796
; NumSgprs: 11
; NumVgprs: 36
; NumAgprs: 0
; TotalNumVgprs: 36
; ScratchSize: 0
; MemoryBound: 0
; FloatMode: 240
; IeeeMode: 1
; LDSByteSize: 0 bytes/workgroup (compile time only)
; SGPRBlocks: 1
; VGPRBlocks: 4
; NumSGPRsForWavesPerEU: 11
; NumVGPRsForWavesPerEU: 36
; AccumOffset: 36
; Occupancy: 8
; WaveLimiterHint : 1
; COMPUTE_PGM_RSRC2:SCRATCH_EN: 0
; COMPUTE_PGM_RSRC2:USER_SGPR: 6
; COMPUTE_PGM_RSRC2:TRAP_HANDLER: 0
; COMPUTE_PGM_RSRC2:TGID_X_EN: 1
; COMPUTE_PGM_RSRC2:TGID_Y_EN: 0
; COMPUTE_PGM_RSRC2:TGID_Z_EN: 0
; COMPUTE_PGM_RSRC2:TIDIG_COMP_CNT: 0
; COMPUTE_PGM_RSRC3_GFX90A:ACCUM_OFFSET: 8
; COMPUTE_PGM_RSRC3_GFX90A:TG_SPLIT: 0
	.section	.text._Z16warp_load_kernelILj256ELj16ELj32ELN6hipcub17WarpLoadAlgorithmE2EiEvPT3_S3_,"axG",@progbits,_Z16warp_load_kernelILj256ELj16ELj32ELN6hipcub17WarpLoadAlgorithmE2EiEvPT3_S3_,comdat
	.protected	_Z16warp_load_kernelILj256ELj16ELj32ELN6hipcub17WarpLoadAlgorithmE2EiEvPT3_S3_ ; -- Begin function _Z16warp_load_kernelILj256ELj16ELj32ELN6hipcub17WarpLoadAlgorithmE2EiEvPT3_S3_
	.globl	_Z16warp_load_kernelILj256ELj16ELj32ELN6hipcub17WarpLoadAlgorithmE2EiEvPT3_S3_
	.p2align	8
	.type	_Z16warp_load_kernelILj256ELj16ELj32ELN6hipcub17WarpLoadAlgorithmE2EiEvPT3_S3_,@function
_Z16warp_load_kernelILj256ELj16ELj32ELN6hipcub17WarpLoadAlgorithmE2EiEvPT3_S3_: ; @_Z16warp_load_kernelILj256ELj16ELj32ELN6hipcub17WarpLoadAlgorithmE2EiEvPT3_S3_
; %bb.0:
	s_load_dwordx4 s[0:3], s[4:5], 0x0
	v_lshlrev_b32_e32 v2, 4, v0
	s_lshl_b32 s4, s6, 12
	v_and_b32_e32 v2, 0xe00, v2
	v_mbcnt_lo_u32_b32 v1, -1, 0
	v_or_b32_e32 v18, s4, v2
	v_mov_b32_e32 v19, 0
	v_mbcnt_hi_u32_b32 v1, -1, v1
	v_lshlrev_b64 v[2:3], 2, v[18:19]
	s_waitcnt lgkmcnt(0)
	v_mov_b32_e32 v4, s1
	v_add_co_u32_e32 v2, vcc, s0, v2
	v_lshlrev_b32_e32 v1, 6, v1
	v_addc_co_u32_e32 v3, vcc, v4, v3, vcc
	v_and_b32_e32 v1, 0x7c0, v1
	v_add_co_u32_e32 v20, vcc, v2, v1
	v_addc_co_u32_e32 v21, vcc, 0, v3, vcc
	global_load_dwordx4 v[2:5], v[20:21], off
	global_load_dwordx4 v[6:9], v[20:21], off offset:16
	global_load_dwordx4 v[10:13], v[20:21], off offset:32
	;; [unrolled: 1-line block ×3, first 2 shown]
	v_or_b32_e32 v18, s4, v0
	v_lshlrev_b64 v[30:31], 2, v[18:19]
	v_mov_b32_e32 v1, v19
	v_or_b32_e32 v0, 0x400, v18
	v_mov_b32_e32 v32, s3
	v_add_co_u32_e32 v30, vcc, s2, v30
	v_lshlrev_b64 v[0:1], 2, v[0:1]
	v_addc_co_u32_e32 v31, vcc, v32, v31, vcc
	v_mov_b32_e32 v21, v19
	v_or_b32_e32 v20, 0x500, v18
	v_mov_b32_e32 v33, s3
	v_add_co_u32_e32 v0, vcc, s2, v0
	v_lshlrev_b64 v[20:21], 2, v[20:21]
	v_addc_co_u32_e32 v1, vcc, v33, v1, vcc
	;; [unrolled: 6-line block ×6, first 2 shown]
	v_mov_b32_e32 v38, s3
	s_waitcnt vmcnt(3)
	global_store_dword v[30:31], v2, off
	global_store_dword v[30:31], v3, off offset:1024
	global_store_dword v[30:31], v4, off offset:2048
	;; [unrolled: 1-line block ×3, first 2 shown]
	s_waitcnt vmcnt(6)
	global_store_dword v[0:1], v6, off
	global_store_dword v[20:21], v7, off
	;; [unrolled: 1-line block ×4, first 2 shown]
	s_waitcnt vmcnt(9)
	global_store_dword v[26:27], v10, off
	v_add_co_u32_e32 v0, vcc, s2, v28
	v_addc_co_u32_e32 v1, vcc, v38, v29, vcc
	global_store_dword v[0:1], v11, off
	v_or_b32_e32 v0, 0xa00, v18
	v_mov_b32_e32 v1, v19
	v_lshlrev_b64 v[0:1], 2, v[0:1]
	v_mov_b32_e32 v2, s3
	v_add_co_u32_e32 v0, vcc, s2, v0
	v_addc_co_u32_e32 v1, vcc, v2, v1, vcc
	global_store_dword v[0:1], v12, off
	v_or_b32_e32 v0, 0xb00, v18
	v_mov_b32_e32 v1, v19
	v_lshlrev_b64 v[0:1], 2, v[0:1]
	v_add_co_u32_e32 v0, vcc, s2, v0
	v_addc_co_u32_e32 v1, vcc, v2, v1, vcc
	global_store_dword v[0:1], v13, off
	v_or_b32_e32 v0, 0xc00, v18
	v_mov_b32_e32 v1, v19
	v_lshlrev_b64 v[0:1], 2, v[0:1]
	v_add_co_u32_e32 v0, vcc, s2, v0
	v_addc_co_u32_e32 v1, vcc, v2, v1, vcc
	s_waitcnt vmcnt(12)
	global_store_dword v[0:1], v14, off
	v_or_b32_e32 v0, 0xd00, v18
	v_mov_b32_e32 v1, v19
	v_lshlrev_b64 v[0:1], 2, v[0:1]
	v_add_co_u32_e32 v0, vcc, s2, v0
	v_addc_co_u32_e32 v1, vcc, v2, v1, vcc
	global_store_dword v[0:1], v15, off
	v_or_b32_e32 v0, 0xe00, v18
	v_mov_b32_e32 v1, v19
	v_lshlrev_b64 v[0:1], 2, v[0:1]
	v_add_co_u32_e32 v0, vcc, s2, v0
	v_addc_co_u32_e32 v1, vcc, v2, v1, vcc
	v_or_b32_e32 v18, 0xf00, v18
	global_store_dword v[0:1], v16, off
	v_lshlrev_b64 v[0:1], 2, v[18:19]
	v_add_co_u32_e32 v0, vcc, s2, v0
	v_addc_co_u32_e32 v1, vcc, v2, v1, vcc
	global_store_dword v[0:1], v17, off
	s_endpgm
	.section	.rodata,"a",@progbits
	.p2align	6, 0x0
	.amdhsa_kernel _Z16warp_load_kernelILj256ELj16ELj32ELN6hipcub17WarpLoadAlgorithmE2EiEvPT3_S3_
		.amdhsa_group_segment_fixed_size 0
		.amdhsa_private_segment_fixed_size 0
		.amdhsa_kernarg_size 16
		.amdhsa_user_sgpr_count 6
		.amdhsa_user_sgpr_private_segment_buffer 1
		.amdhsa_user_sgpr_dispatch_ptr 0
		.amdhsa_user_sgpr_queue_ptr 0
		.amdhsa_user_sgpr_kernarg_segment_ptr 1
		.amdhsa_user_sgpr_dispatch_id 0
		.amdhsa_user_sgpr_flat_scratch_init 0
		.amdhsa_user_sgpr_kernarg_preload_length 0
		.amdhsa_user_sgpr_kernarg_preload_offset 0
		.amdhsa_user_sgpr_private_segment_size 0
		.amdhsa_uses_dynamic_stack 0
		.amdhsa_system_sgpr_private_segment_wavefront_offset 0
		.amdhsa_system_sgpr_workgroup_id_x 1
		.amdhsa_system_sgpr_workgroup_id_y 0
		.amdhsa_system_sgpr_workgroup_id_z 0
		.amdhsa_system_sgpr_workgroup_info 0
		.amdhsa_system_vgpr_workitem_id 0
		.amdhsa_next_free_vgpr 39
		.amdhsa_next_free_sgpr 7
		.amdhsa_accum_offset 40
		.amdhsa_reserve_vcc 1
		.amdhsa_reserve_flat_scratch 0
		.amdhsa_float_round_mode_32 0
		.amdhsa_float_round_mode_16_64 0
		.amdhsa_float_denorm_mode_32 3
		.amdhsa_float_denorm_mode_16_64 3
		.amdhsa_dx10_clamp 1
		.amdhsa_ieee_mode 1
		.amdhsa_fp16_overflow 0
		.amdhsa_tg_split 0
		.amdhsa_exception_fp_ieee_invalid_op 0
		.amdhsa_exception_fp_denorm_src 0
		.amdhsa_exception_fp_ieee_div_zero 0
		.amdhsa_exception_fp_ieee_overflow 0
		.amdhsa_exception_fp_ieee_underflow 0
		.amdhsa_exception_fp_ieee_inexact 0
		.amdhsa_exception_int_div_zero 0
	.end_amdhsa_kernel
	.section	.text._Z16warp_load_kernelILj256ELj16ELj32ELN6hipcub17WarpLoadAlgorithmE2EiEvPT3_S3_,"axG",@progbits,_Z16warp_load_kernelILj256ELj16ELj32ELN6hipcub17WarpLoadAlgorithmE2EiEvPT3_S3_,comdat
.Lfunc_end10:
	.size	_Z16warp_load_kernelILj256ELj16ELj32ELN6hipcub17WarpLoadAlgorithmE2EiEvPT3_S3_, .Lfunc_end10-_Z16warp_load_kernelILj256ELj16ELj32ELN6hipcub17WarpLoadAlgorithmE2EiEvPT3_S3_
                                        ; -- End function
	.section	.AMDGPU.csdata,"",@progbits
; Kernel info:
; codeLenInByte = 656
; NumSgprs: 11
; NumVgprs: 39
; NumAgprs: 0
; TotalNumVgprs: 39
; ScratchSize: 0
; MemoryBound: 0
; FloatMode: 240
; IeeeMode: 1
; LDSByteSize: 0 bytes/workgroup (compile time only)
; SGPRBlocks: 1
; VGPRBlocks: 4
; NumSGPRsForWavesPerEU: 11
; NumVGPRsForWavesPerEU: 39
; AccumOffset: 40
; Occupancy: 8
; WaveLimiterHint : 1
; COMPUTE_PGM_RSRC2:SCRATCH_EN: 0
; COMPUTE_PGM_RSRC2:USER_SGPR: 6
; COMPUTE_PGM_RSRC2:TRAP_HANDLER: 0
; COMPUTE_PGM_RSRC2:TGID_X_EN: 1
; COMPUTE_PGM_RSRC2:TGID_Y_EN: 0
; COMPUTE_PGM_RSRC2:TGID_Z_EN: 0
; COMPUTE_PGM_RSRC2:TIDIG_COMP_CNT: 0
; COMPUTE_PGM_RSRC3_GFX90A:ACCUM_OFFSET: 9
; COMPUTE_PGM_RSRC3_GFX90A:TG_SPLIT: 0
	.section	.text._Z16warp_load_kernelILj256ELj16ELj32ELN6hipcub17WarpLoadAlgorithmE3EiEvPT3_S3_,"axG",@progbits,_Z16warp_load_kernelILj256ELj16ELj32ELN6hipcub17WarpLoadAlgorithmE3EiEvPT3_S3_,comdat
	.protected	_Z16warp_load_kernelILj256ELj16ELj32ELN6hipcub17WarpLoadAlgorithmE3EiEvPT3_S3_ ; -- Begin function _Z16warp_load_kernelILj256ELj16ELj32ELN6hipcub17WarpLoadAlgorithmE3EiEvPT3_S3_
	.globl	_Z16warp_load_kernelILj256ELj16ELj32ELN6hipcub17WarpLoadAlgorithmE3EiEvPT3_S3_
	.p2align	8
	.type	_Z16warp_load_kernelILj256ELj16ELj32ELN6hipcub17WarpLoadAlgorithmE3EiEvPT3_S3_,@function
_Z16warp_load_kernelILj256ELj16ELj32ELN6hipcub17WarpLoadAlgorithmE3EiEvPT3_S3_: ; @_Z16warp_load_kernelILj256ELj16ELj32ELN6hipcub17WarpLoadAlgorithmE3EiEvPT3_S3_
; %bb.0:
	s_load_dwordx4 s[0:3], s[4:5], 0x0
	v_lshrrev_b32_e32 v4, 5, v0
	s_lshl_b32 s4, s6, 12
	v_mbcnt_lo_u32_b32 v1, -1, 0
	v_lshl_or_b32 v16, v4, 9, s4
	v_mov_b32_e32 v17, 0
	v_mbcnt_hi_u32_b32 v1, -1, v1
	v_lshlrev_b64 v[2:3], 2, v[16:17]
	v_and_b32_e32 v8, 31, v1
	s_waitcnt lgkmcnt(0)
	v_mov_b32_e32 v1, s1
	v_add_co_u32_e32 v2, vcc, s0, v2
	v_addc_co_u32_e32 v1, vcc, v1, v3, vcc
	v_lshlrev_b32_e32 v6, 2, v8
	v_add_co_u32_e32 v2, vcc, v2, v6
	v_addc_co_u32_e32 v3, vcc, 0, v1, vcc
	global_load_dword v9, v[2:3], off
	global_load_dword v10, v[2:3], off offset:128
	global_load_dword v11, v[2:3], off offset:256
	;; [unrolled: 1-line block ×15, first 2 shown]
	v_or_b32_e32 v16, s4, v0
	v_lshl_or_b32 v35, v4, 11, v6
	v_lshlrev_b64 v[6:7], 2, v[16:17]
	v_mov_b32_e32 v1, v17
	v_or_b32_e32 v0, 0x400, v16
	v_mad_u32_u24 v37, v8, 60, v35
	v_mov_b32_e32 v8, s3
	v_add_co_u32_e32 v20, vcc, s2, v6
	v_lshlrev_b64 v[0:1], 2, v[0:1]
	v_addc_co_u32_e32 v21, vcc, v8, v7, vcc
	v_mov_b32_e32 v3, v17
	v_or_b32_e32 v2, 0x500, v16
	v_mov_b32_e32 v23, s3
	v_add_co_u32_e32 v22, vcc, s2, v0
	v_lshlrev_b64 v[2:3], 2, v[2:3]
	v_addc_co_u32_e32 v23, vcc, v23, v1, vcc
	v_mov_b32_e32 v5, v17
	v_or_b32_e32 v4, 0x600, v16
	v_mov_b32_e32 v25, s3
	v_add_co_u32_e32 v24, vcc, s2, v2
	v_add_u32_e32 v36, 0x400, v35
	v_lshlrev_b64 v[4:5], 2, v[4:5]
	v_addc_co_u32_e32 v25, vcc, v25, v3, vcc
	v_mov_b32_e32 v38, s3
	v_mov_b32_e32 v19, v17
	v_or_b32_e32 v18, 0x700, v16
	s_waitcnt vmcnt(14)
	ds_write2_b32 v35, v9, v10 offset1:32
	s_waitcnt vmcnt(12)
	ds_write2_b32 v35, v11, v12 offset0:64 offset1:96
	s_waitcnt vmcnt(10)
	ds_write2_b32 v35, v13, v14 offset0:128 offset1:160
	;; [unrolled: 2-line block ×3, first 2 shown]
	s_waitcnt vmcnt(6)
	ds_write2_b32 v36, v27, v28 offset1:32
	s_waitcnt vmcnt(4)
	ds_write2_b32 v36, v29, v30 offset0:64 offset1:96
	s_waitcnt vmcnt(2)
	ds_write2_b32 v36, v31, v32 offset0:128 offset1:160
	;; [unrolled: 2-line block ×3, first 2 shown]
	; wave barrier
	ds_read_b128 v[0:3], v37
	v_add_co_u32_e32 v26, vcc, s2, v4
	v_addc_co_u32_e32 v27, vcc, v38, v5, vcc
	ds_read_b128 v[4:7], v37 offset:16
	ds_read_b128 v[8:11], v37 offset:32
	;; [unrolled: 1-line block ×3, first 2 shown]
	s_waitcnt lgkmcnt(3)
	global_store_dword v[20:21], v0, off
	global_store_dword v[20:21], v1, off offset:1024
	global_store_dword v[20:21], v2, off offset:2048
	;; [unrolled: 1-line block ×3, first 2 shown]
	s_waitcnt lgkmcnt(2)
	global_store_dword v[22:23], v4, off
	global_store_dword v[24:25], v5, off
	;; [unrolled: 1-line block ×3, first 2 shown]
	v_lshlrev_b64 v[0:1], 2, v[18:19]
	v_mov_b32_e32 v2, s3
	v_add_co_u32_e32 v0, vcc, s2, v0
	v_addc_co_u32_e32 v1, vcc, v2, v1, vcc
	global_store_dword v[0:1], v7, off
	v_or_b32_e32 v0, 0x800, v16
	v_mov_b32_e32 v1, v17
	v_lshlrev_b64 v[0:1], 2, v[0:1]
	v_add_co_u32_e32 v0, vcc, s2, v0
	v_addc_co_u32_e32 v1, vcc, v2, v1, vcc
	s_waitcnt lgkmcnt(1)
	global_store_dword v[0:1], v8, off
	v_or_b32_e32 v0, 0x900, v16
	v_mov_b32_e32 v1, v17
	v_lshlrev_b64 v[0:1], 2, v[0:1]
	v_add_co_u32_e32 v0, vcc, s2, v0
	v_addc_co_u32_e32 v1, vcc, v2, v1, vcc
	global_store_dword v[0:1], v9, off
	v_or_b32_e32 v0, 0xa00, v16
	v_mov_b32_e32 v1, v17
	v_lshlrev_b64 v[0:1], 2, v[0:1]
	v_add_co_u32_e32 v0, vcc, s2, v0
	v_addc_co_u32_e32 v1, vcc, v2, v1, vcc
	;; [unrolled: 6-line block ×4, first 2 shown]
	s_waitcnt lgkmcnt(0)
	global_store_dword v[0:1], v12, off
	v_or_b32_e32 v0, 0xd00, v16
	v_mov_b32_e32 v1, v17
	v_lshlrev_b64 v[0:1], 2, v[0:1]
	v_add_co_u32_e32 v0, vcc, s2, v0
	v_addc_co_u32_e32 v1, vcc, v2, v1, vcc
	global_store_dword v[0:1], v13, off
	v_or_b32_e32 v0, 0xe00, v16
	v_mov_b32_e32 v1, v17
	v_lshlrev_b64 v[0:1], 2, v[0:1]
	v_add_co_u32_e32 v0, vcc, s2, v0
	v_addc_co_u32_e32 v1, vcc, v2, v1, vcc
	v_or_b32_e32 v16, 0xf00, v16
	global_store_dword v[0:1], v14, off
	v_lshlrev_b64 v[0:1], 2, v[16:17]
	v_add_co_u32_e32 v0, vcc, s2, v0
	v_addc_co_u32_e32 v1, vcc, v2, v1, vcc
	global_store_dword v[0:1], v15, off
	s_endpgm
	.section	.rodata,"a",@progbits
	.p2align	6, 0x0
	.amdhsa_kernel _Z16warp_load_kernelILj256ELj16ELj32ELN6hipcub17WarpLoadAlgorithmE3EiEvPT3_S3_
		.amdhsa_group_segment_fixed_size 16384
		.amdhsa_private_segment_fixed_size 0
		.amdhsa_kernarg_size 16
		.amdhsa_user_sgpr_count 6
		.amdhsa_user_sgpr_private_segment_buffer 1
		.amdhsa_user_sgpr_dispatch_ptr 0
		.amdhsa_user_sgpr_queue_ptr 0
		.amdhsa_user_sgpr_kernarg_segment_ptr 1
		.amdhsa_user_sgpr_dispatch_id 0
		.amdhsa_user_sgpr_flat_scratch_init 0
		.amdhsa_user_sgpr_kernarg_preload_length 0
		.amdhsa_user_sgpr_kernarg_preload_offset 0
		.amdhsa_user_sgpr_private_segment_size 0
		.amdhsa_uses_dynamic_stack 0
		.amdhsa_system_sgpr_private_segment_wavefront_offset 0
		.amdhsa_system_sgpr_workgroup_id_x 1
		.amdhsa_system_sgpr_workgroup_id_y 0
		.amdhsa_system_sgpr_workgroup_id_z 0
		.amdhsa_system_sgpr_workgroup_info 0
		.amdhsa_system_vgpr_workitem_id 0
		.amdhsa_next_free_vgpr 39
		.amdhsa_next_free_sgpr 7
		.amdhsa_accum_offset 40
		.amdhsa_reserve_vcc 1
		.amdhsa_reserve_flat_scratch 0
		.amdhsa_float_round_mode_32 0
		.amdhsa_float_round_mode_16_64 0
		.amdhsa_float_denorm_mode_32 3
		.amdhsa_float_denorm_mode_16_64 3
		.amdhsa_dx10_clamp 1
		.amdhsa_ieee_mode 1
		.amdhsa_fp16_overflow 0
		.amdhsa_tg_split 0
		.amdhsa_exception_fp_ieee_invalid_op 0
		.amdhsa_exception_fp_denorm_src 0
		.amdhsa_exception_fp_ieee_div_zero 0
		.amdhsa_exception_fp_ieee_overflow 0
		.amdhsa_exception_fp_ieee_underflow 0
		.amdhsa_exception_fp_ieee_inexact 0
		.amdhsa_exception_int_div_zero 0
	.end_amdhsa_kernel
	.section	.text._Z16warp_load_kernelILj256ELj16ELj32ELN6hipcub17WarpLoadAlgorithmE3EiEvPT3_S3_,"axG",@progbits,_Z16warp_load_kernelILj256ELj16ELj32ELN6hipcub17WarpLoadAlgorithmE3EiEvPT3_S3_,comdat
.Lfunc_end11:
	.size	_Z16warp_load_kernelILj256ELj16ELj32ELN6hipcub17WarpLoadAlgorithmE3EiEvPT3_S3_, .Lfunc_end11-_Z16warp_load_kernelILj256ELj16ELj32ELN6hipcub17WarpLoadAlgorithmE3EiEvPT3_S3_
                                        ; -- End function
	.section	.AMDGPU.csdata,"",@progbits
; Kernel info:
; codeLenInByte = 884
; NumSgprs: 11
; NumVgprs: 39
; NumAgprs: 0
; TotalNumVgprs: 39
; ScratchSize: 0
; MemoryBound: 1
; FloatMode: 240
; IeeeMode: 1
; LDSByteSize: 16384 bytes/workgroup (compile time only)
; SGPRBlocks: 1
; VGPRBlocks: 4
; NumSGPRsForWavesPerEU: 11
; NumVGPRsForWavesPerEU: 39
; AccumOffset: 40
; Occupancy: 4
; WaveLimiterHint : 1
; COMPUTE_PGM_RSRC2:SCRATCH_EN: 0
; COMPUTE_PGM_RSRC2:USER_SGPR: 6
; COMPUTE_PGM_RSRC2:TRAP_HANDLER: 0
; COMPUTE_PGM_RSRC2:TGID_X_EN: 1
; COMPUTE_PGM_RSRC2:TGID_Y_EN: 0
; COMPUTE_PGM_RSRC2:TGID_Z_EN: 0
; COMPUTE_PGM_RSRC2:TIDIG_COMP_CNT: 0
; COMPUTE_PGM_RSRC3_GFX90A:ACCUM_OFFSET: 9
; COMPUTE_PGM_RSRC3_GFX90A:TG_SPLIT: 0
	.section	.text._Z16warp_load_kernelILj256ELj32ELj32ELN6hipcub17WarpLoadAlgorithmE0EiEvPT3_S3_,"axG",@progbits,_Z16warp_load_kernelILj256ELj32ELj32ELN6hipcub17WarpLoadAlgorithmE0EiEvPT3_S3_,comdat
	.protected	_Z16warp_load_kernelILj256ELj32ELj32ELN6hipcub17WarpLoadAlgorithmE0EiEvPT3_S3_ ; -- Begin function _Z16warp_load_kernelILj256ELj32ELj32ELN6hipcub17WarpLoadAlgorithmE0EiEvPT3_S3_
	.globl	_Z16warp_load_kernelILj256ELj32ELj32ELN6hipcub17WarpLoadAlgorithmE0EiEvPT3_S3_
	.p2align	8
	.type	_Z16warp_load_kernelILj256ELj32ELj32ELN6hipcub17WarpLoadAlgorithmE0EiEvPT3_S3_,@function
_Z16warp_load_kernelILj256ELj32ELj32ELN6hipcub17WarpLoadAlgorithmE0EiEvPT3_S3_: ; @_Z16warp_load_kernelILj256ELj32ELj32ELN6hipcub17WarpLoadAlgorithmE0EiEvPT3_S3_
; %bb.0:
	s_load_dwordx4 s[0:3], s[4:5], 0x0
	v_lshlrev_b32_e32 v2, 5, v0
	s_lshl_b32 s4, s6, 13
	v_and_b32_e32 v2, 0x1c00, v2
	v_mbcnt_lo_u32_b32 v1, -1, 0
	v_or_b32_e32 v4, s4, v2
	v_mov_b32_e32 v5, 0
	v_mbcnt_hi_u32_b32 v1, -1, v1
	v_lshlrev_b64 v[2:3], 2, v[4:5]
	s_waitcnt lgkmcnt(0)
	v_mov_b32_e32 v4, s1
	v_add_co_u32_e32 v2, vcc, s0, v2
	v_lshlrev_b32_e32 v1, 7, v1
	v_addc_co_u32_e32 v3, vcc, v4, v3, vcc
	v_and_b32_e32 v1, 0xf80, v1
	v_add_co_u32_e32 v34, vcc, v2, v1
	v_addc_co_u32_e32 v35, vcc, 0, v3, vcc
	global_load_dwordx4 v[6:9], v[34:35], off
	global_load_dwordx4 v[10:13], v[34:35], off offset:16
	global_load_dwordx4 v[14:17], v[34:35], off offset:32
	global_load_dwordx4 v[18:21], v[34:35], off offset:48
	v_or_b32_e32 v4, s4, v0
	v_lshlrev_b64 v[30:31], 2, v[4:5]
	v_mov_b32_e32 v1, v5
	v_or_b32_e32 v0, 0x400, v4
	v_mov_b32_e32 v32, s3
	v_add_co_u32_e32 v38, vcc, s2, v30
	v_lshlrev_b64 v[0:1], 2, v[0:1]
	v_addc_co_u32_e32 v39, vcc, v32, v31, vcc
	v_mov_b32_e32 v3, v5
	v_or_b32_e32 v2, 0x500, v4
	v_mov_b32_e32 v33, s3
	v_add_co_u32_e32 v40, vcc, s2, v0
	v_lshlrev_b64 v[2:3], 2, v[2:3]
	v_addc_co_u32_e32 v41, vcc, v33, v1, vcc
	;; [unrolled: 6-line block ×6, first 2 shown]
	global_load_dwordx4 v[22:25], v[34:35], off offset:80
	global_load_dwordx4 v[26:29], v[34:35], off offset:64
	;; [unrolled: 1-line block ×4, first 2 shown]
	s_waitcnt vmcnt(7)
	global_store_dword v[38:39], v6, off
	global_store_dword v[38:39], v7, off offset:1024
	global_store_dword v[38:39], v8, off offset:2048
	;; [unrolled: 1-line block ×3, first 2 shown]
	s_waitcnt vmcnt(10)
	global_store_dword v[40:41], v10, off
	global_store_dword v[42:43], v11, off
	;; [unrolled: 1-line block ×4, first 2 shown]
	s_waitcnt vmcnt(13)
	global_store_dword v[48:49], v14, off
	v_mov_b32_e32 v7, s3
	v_add_co_u32_e32 v6, vcc, s2, v36
	v_addc_co_u32_e32 v7, vcc, v7, v37, vcc
	global_store_dword v[6:7], v15, off
	v_or_b32_e32 v6, 0xa00, v4
	v_mov_b32_e32 v7, v5
	v_lshlrev_b64 v[6:7], 2, v[6:7]
	v_mov_b32_e32 v8, s3
	v_add_co_u32_e32 v6, vcc, s2, v6
	v_addc_co_u32_e32 v7, vcc, v8, v7, vcc
	global_store_dword v[6:7], v16, off
	v_or_b32_e32 v6, 0xb00, v4
	v_mov_b32_e32 v7, v5
	v_lshlrev_b64 v[6:7], 2, v[6:7]
	v_add_co_u32_e32 v6, vcc, s2, v6
	v_addc_co_u32_e32 v7, vcc, v8, v7, vcc
	global_store_dword v[6:7], v17, off
	v_or_b32_e32 v6, 0xc00, v4
	v_mov_b32_e32 v7, v5
	v_lshlrev_b64 v[6:7], 2, v[6:7]
	v_add_co_u32_e32 v6, vcc, s2, v6
	v_addc_co_u32_e32 v7, vcc, v8, v7, vcc
	s_waitcnt vmcnt(16)
	global_store_dword v[6:7], v18, off
	v_or_b32_e32 v6, 0xd00, v4
	v_mov_b32_e32 v7, v5
	v_lshlrev_b64 v[6:7], 2, v[6:7]
	v_add_co_u32_e32 v6, vcc, s2, v6
	v_addc_co_u32_e32 v7, vcc, v8, v7, vcc
	global_store_dword v[6:7], v19, off
	v_or_b32_e32 v6, 0xe00, v4
	v_mov_b32_e32 v7, v5
	v_lshlrev_b64 v[6:7], 2, v[6:7]
	v_add_co_u32_e32 v6, vcc, s2, v6
	v_addc_co_u32_e32 v7, vcc, v8, v7, vcc
	;; [unrolled: 6-line block ×4, first 2 shown]
	s_waitcnt vmcnt(18)
	global_store_dword v[6:7], v26, off
	v_or_b32_e32 v6, 0x1100, v4
	v_mov_b32_e32 v7, v5
	v_lshlrev_b64 v[6:7], 2, v[6:7]
	v_add_co_u32_e32 v6, vcc, s2, v6
	v_addc_co_u32_e32 v7, vcc, v8, v7, vcc
	global_store_dword v[6:7], v27, off
	v_or_b32_e32 v6, 0x1200, v4
	v_mov_b32_e32 v7, v5
	v_lshlrev_b64 v[6:7], 2, v[6:7]
	v_add_co_u32_e32 v6, vcc, s2, v6
	v_addc_co_u32_e32 v7, vcc, v8, v7, vcc
	;; [unrolled: 6-line block ×8, first 2 shown]
	s_waitcnt vmcnt(24)
	global_store_dword v[6:7], v30, off
	v_or_b32_e32 v6, 0x1900, v4
	v_mov_b32_e32 v7, v5
	v_lshlrev_b64 v[6:7], 2, v[6:7]
	v_add_co_u32_e32 v6, vcc, s2, v6
	v_addc_co_u32_e32 v7, vcc, v8, v7, vcc
	global_store_dword v[6:7], v31, off
	v_or_b32_e32 v6, 0x1a00, v4
	v_mov_b32_e32 v7, v5
	v_lshlrev_b64 v[6:7], 2, v[6:7]
	v_add_co_u32_e32 v6, vcc, s2, v6
	v_addc_co_u32_e32 v7, vcc, v8, v7, vcc
	;; [unrolled: 6-line block ×4, first 2 shown]
	global_store_dword v[6:7], v0, off
	v_or_b32_e32 v6, 0x1d00, v4
	v_mov_b32_e32 v7, v5
	v_lshlrev_b64 v[6:7], 2, v[6:7]
	v_mov_b32_e32 v0, s3
	v_add_co_u32_e32 v6, vcc, s2, v6
	v_addc_co_u32_e32 v7, vcc, v0, v7, vcc
	global_store_dword v[6:7], v1, off
	v_or_b32_e32 v0, 0x1e00, v4
	v_mov_b32_e32 v1, v5
	v_lshlrev_b64 v[0:1], 2, v[0:1]
	v_mov_b32_e32 v6, s3
	v_add_co_u32_e32 v0, vcc, s2, v0
	v_addc_co_u32_e32 v1, vcc, v6, v1, vcc
	v_or_b32_e32 v4, 0x1f00, v4
	global_store_dword v[0:1], v2, off
	v_lshlrev_b64 v[0:1], 2, v[4:5]
	v_mov_b32_e32 v2, s3
	v_add_co_u32_e32 v0, vcc, s2, v0
	v_addc_co_u32_e32 v1, vcc, v2, v1, vcc
	global_store_dword v[0:1], v3, off
	s_endpgm
	.section	.rodata,"a",@progbits
	.p2align	6, 0x0
	.amdhsa_kernel _Z16warp_load_kernelILj256ELj32ELj32ELN6hipcub17WarpLoadAlgorithmE0EiEvPT3_S3_
		.amdhsa_group_segment_fixed_size 0
		.amdhsa_private_segment_fixed_size 0
		.amdhsa_kernarg_size 16
		.amdhsa_user_sgpr_count 6
		.amdhsa_user_sgpr_private_segment_buffer 1
		.amdhsa_user_sgpr_dispatch_ptr 0
		.amdhsa_user_sgpr_queue_ptr 0
		.amdhsa_user_sgpr_kernarg_segment_ptr 1
		.amdhsa_user_sgpr_dispatch_id 0
		.amdhsa_user_sgpr_flat_scratch_init 0
		.amdhsa_user_sgpr_kernarg_preload_length 0
		.amdhsa_user_sgpr_kernarg_preload_offset 0
		.amdhsa_user_sgpr_private_segment_size 0
		.amdhsa_uses_dynamic_stack 0
		.amdhsa_system_sgpr_private_segment_wavefront_offset 0
		.amdhsa_system_sgpr_workgroup_id_x 1
		.amdhsa_system_sgpr_workgroup_id_y 0
		.amdhsa_system_sgpr_workgroup_id_z 0
		.amdhsa_system_sgpr_workgroup_info 0
		.amdhsa_system_vgpr_workitem_id 0
		.amdhsa_next_free_vgpr 50
		.amdhsa_next_free_sgpr 7
		.amdhsa_accum_offset 52
		.amdhsa_reserve_vcc 1
		.amdhsa_reserve_flat_scratch 0
		.amdhsa_float_round_mode_32 0
		.amdhsa_float_round_mode_16_64 0
		.amdhsa_float_denorm_mode_32 3
		.amdhsa_float_denorm_mode_16_64 3
		.amdhsa_dx10_clamp 1
		.amdhsa_ieee_mode 1
		.amdhsa_fp16_overflow 0
		.amdhsa_tg_split 0
		.amdhsa_exception_fp_ieee_invalid_op 0
		.amdhsa_exception_fp_denorm_src 0
		.amdhsa_exception_fp_ieee_div_zero 0
		.amdhsa_exception_fp_ieee_overflow 0
		.amdhsa_exception_fp_ieee_underflow 0
		.amdhsa_exception_fp_ieee_inexact 0
		.amdhsa_exception_int_div_zero 0
	.end_amdhsa_kernel
	.section	.text._Z16warp_load_kernelILj256ELj32ELj32ELN6hipcub17WarpLoadAlgorithmE0EiEvPT3_S3_,"axG",@progbits,_Z16warp_load_kernelILj256ELj32ELj32ELN6hipcub17WarpLoadAlgorithmE0EiEvPT3_S3_,comdat
.Lfunc_end12:
	.size	_Z16warp_load_kernelILj256ELj32ELj32ELN6hipcub17WarpLoadAlgorithmE0EiEvPT3_S3_, .Lfunc_end12-_Z16warp_load_kernelILj256ELj32ELj32ELN6hipcub17WarpLoadAlgorithmE0EiEvPT3_S3_
                                        ; -- End function
	.section	.AMDGPU.csdata,"",@progbits
; Kernel info:
; codeLenInByte = 1284
; NumSgprs: 11
; NumVgprs: 50
; NumAgprs: 0
; TotalNumVgprs: 50
; ScratchSize: 0
; MemoryBound: 0
; FloatMode: 240
; IeeeMode: 1
; LDSByteSize: 0 bytes/workgroup (compile time only)
; SGPRBlocks: 1
; VGPRBlocks: 6
; NumSGPRsForWavesPerEU: 11
; NumVGPRsForWavesPerEU: 50
; AccumOffset: 52
; Occupancy: 8
; WaveLimiterHint : 1
; COMPUTE_PGM_RSRC2:SCRATCH_EN: 0
; COMPUTE_PGM_RSRC2:USER_SGPR: 6
; COMPUTE_PGM_RSRC2:TRAP_HANDLER: 0
; COMPUTE_PGM_RSRC2:TGID_X_EN: 1
; COMPUTE_PGM_RSRC2:TGID_Y_EN: 0
; COMPUTE_PGM_RSRC2:TGID_Z_EN: 0
; COMPUTE_PGM_RSRC2:TIDIG_COMP_CNT: 0
; COMPUTE_PGM_RSRC3_GFX90A:ACCUM_OFFSET: 12
; COMPUTE_PGM_RSRC3_GFX90A:TG_SPLIT: 0
	.section	.text._Z16warp_load_kernelILj256ELj32ELj32ELN6hipcub17WarpLoadAlgorithmE1EiEvPT3_S3_,"axG",@progbits,_Z16warp_load_kernelILj256ELj32ELj32ELN6hipcub17WarpLoadAlgorithmE1EiEvPT3_S3_,comdat
	.protected	_Z16warp_load_kernelILj256ELj32ELj32ELN6hipcub17WarpLoadAlgorithmE1EiEvPT3_S3_ ; -- Begin function _Z16warp_load_kernelILj256ELj32ELj32ELN6hipcub17WarpLoadAlgorithmE1EiEvPT3_S3_
	.globl	_Z16warp_load_kernelILj256ELj32ELj32ELN6hipcub17WarpLoadAlgorithmE1EiEvPT3_S3_
	.p2align	8
	.type	_Z16warp_load_kernelILj256ELj32ELj32ELN6hipcub17WarpLoadAlgorithmE1EiEvPT3_S3_,@function
_Z16warp_load_kernelILj256ELj32ELj32ELN6hipcub17WarpLoadAlgorithmE1EiEvPT3_S3_: ; @_Z16warp_load_kernelILj256ELj32ELj32ELN6hipcub17WarpLoadAlgorithmE1EiEvPT3_S3_
; %bb.0:
	s_load_dwordx4 s[0:3], s[4:5], 0x0
	v_lshlrev_b32_e32 v2, 5, v0
	s_lshl_b32 s4, s6, 13
	v_and_b32_e32 v2, 0x1c00, v2
	v_mbcnt_lo_u32_b32 v1, -1, 0
	v_or_b32_e32 v2, s4, v2
	v_mov_b32_e32 v3, 0
	v_mbcnt_hi_u32_b32 v1, -1, v1
	v_lshlrev_b64 v[4:5], 2, v[2:3]
	v_and_b32_e32 v1, 31, v1
	s_waitcnt lgkmcnt(0)
	v_mov_b32_e32 v2, s1
	v_add_co_u32_e32 v4, vcc, s0, v4
	v_addc_co_u32_e32 v2, vcc, v2, v5, vcc
	v_lshlrev_b32_e32 v1, 2, v1
	v_add_co_u32_e32 v4, vcc, v4, v1
	v_addc_co_u32_e32 v5, vcc, 0, v2, vcc
	global_load_dword v12, v[4:5], off
	global_load_dword v13, v[4:5], off offset:128
	global_load_dword v14, v[4:5], off offset:256
	global_load_dword v15, v[4:5], off offset:384
	global_load_dword v16, v[4:5], off offset:512
	global_load_dword v17, v[4:5], off offset:640
	global_load_dword v18, v[4:5], off offset:768
	global_load_dword v19, v[4:5], off offset:896
	global_load_dword v20, v[4:5], off offset:1024
	global_load_dword v21, v[4:5], off offset:1152
	global_load_dword v26, v[4:5], off offset:1280
	v_or_b32_e32 v2, s4, v0
	v_lshlrev_b64 v[10:11], 2, v[2:3]
	v_mov_b32_e32 v22, s3
	v_add_co_u32_e32 v10, vcc, s2, v10
	v_addc_co_u32_e32 v11, vcc, v22, v11, vcc
	global_load_dword v22, v[4:5], off offset:1408
	v_mov_b32_e32 v1, v3
	v_or_b32_e32 v0, 0x400, v2
	v_lshlrev_b64 v[0:1], 2, v[0:1]
	v_mov_b32_e32 v7, v3
	v_or_b32_e32 v6, 0x500, v2
	v_mov_b32_e32 v23, s3
	v_add_co_u32_e32 v0, vcc, s2, v0
	v_lshlrev_b64 v[6:7], 2, v[6:7]
	v_addc_co_u32_e32 v1, vcc, v23, v1, vcc
	v_mov_b32_e32 v24, s3
	v_add_co_u32_e32 v6, vcc, s2, v6
	v_addc_co_u32_e32 v7, vcc, v24, v7, vcc
	global_load_dword v23, v[4:5], off offset:1536
	global_load_dword v24, v[4:5], off offset:1664
	global_load_dword v27, v[4:5], off offset:1792
	global_load_dword v28, v[4:5], off offset:1920
	global_load_dword v29, v[4:5], off offset:2048
	global_load_dword v30, v[4:5], off offset:2176
	global_load_dword v31, v[4:5], off offset:2304
	global_load_dword v32, v[4:5], off offset:2432
	global_load_dword v33, v[4:5], off offset:2560
	global_load_dword v34, v[4:5], off offset:2688
	global_load_dword v35, v[4:5], off offset:2816
	global_load_dword v36, v[4:5], off offset:2944
	global_load_dword v37, v[4:5], off offset:3072
	global_load_dword v38, v[4:5], off offset:3200
	global_load_dword v39, v[4:5], off offset:3328
	global_load_dword v40, v[4:5], off offset:3456
	global_load_dword v41, v[4:5], off offset:3584
	global_load_dword v42, v[4:5], off offset:3712
	global_load_dword v43, v[4:5], off offset:3840
	global_load_dword v44, v[4:5], off offset:3968
	v_mov_b32_e32 v9, v3
	v_or_b32_e32 v8, 0x600, v2
	v_lshlrev_b64 v[8:9], 2, v[8:9]
	v_mov_b32_e32 v25, s3
	v_mov_b32_e32 v4, s3
	s_waitcnt vmcnt(31)
	global_store_dword v[10:11], v12, off
	s_waitcnt vmcnt(31)
	global_store_dword v[10:11], v13, off offset:1024
	s_waitcnt vmcnt(31)
	global_store_dword v[10:11], v14, off offset:2048
	;; [unrolled: 2-line block ×3, first 2 shown]
	s_waitcnt vmcnt(31)
	global_store_dword v[0:1], v16, off
	s_waitcnt vmcnt(31)
	global_store_dword v[6:7], v17, off
	v_add_co_u32_e32 v0, vcc, s2, v8
	v_addc_co_u32_e32 v1, vcc, v25, v9, vcc
	s_waitcnt vmcnt(31)
	global_store_dword v[0:1], v18, off
	v_or_b32_e32 v0, 0x700, v2
	v_mov_b32_e32 v1, v3
	v_lshlrev_b64 v[0:1], 2, v[0:1]
	v_add_co_u32_e32 v0, vcc, s2, v0
	v_addc_co_u32_e32 v1, vcc, v4, v1, vcc
	s_waitcnt vmcnt(31)
	global_store_dword v[0:1], v19, off
	v_or_b32_e32 v0, 0x800, v2
	v_mov_b32_e32 v1, v3
	v_lshlrev_b64 v[0:1], 2, v[0:1]
	;; [unrolled: 7-line block ×24, first 2 shown]
	v_add_co_u32_e32 v0, vcc, s2, v0
	v_addc_co_u32_e32 v1, vcc, v4, v1, vcc
	v_or_b32_e32 v2, 0x1f00, v2
	s_waitcnt vmcnt(31)
	global_store_dword v[0:1], v43, off
	v_lshlrev_b64 v[0:1], 2, v[2:3]
	v_mov_b32_e32 v2, s3
	v_add_co_u32_e32 v0, vcc, s2, v0
	v_addc_co_u32_e32 v1, vcc, v2, v1, vcc
	s_waitcnt vmcnt(31)
	global_store_dword v[0:1], v44, off
	s_endpgm
	.section	.rodata,"a",@progbits
	.p2align	6, 0x0
	.amdhsa_kernel _Z16warp_load_kernelILj256ELj32ELj32ELN6hipcub17WarpLoadAlgorithmE1EiEvPT3_S3_
		.amdhsa_group_segment_fixed_size 0
		.amdhsa_private_segment_fixed_size 0
		.amdhsa_kernarg_size 16
		.amdhsa_user_sgpr_count 6
		.amdhsa_user_sgpr_private_segment_buffer 1
		.amdhsa_user_sgpr_dispatch_ptr 0
		.amdhsa_user_sgpr_queue_ptr 0
		.amdhsa_user_sgpr_kernarg_segment_ptr 1
		.amdhsa_user_sgpr_dispatch_id 0
		.amdhsa_user_sgpr_flat_scratch_init 0
		.amdhsa_user_sgpr_kernarg_preload_length 0
		.amdhsa_user_sgpr_kernarg_preload_offset 0
		.amdhsa_user_sgpr_private_segment_size 0
		.amdhsa_uses_dynamic_stack 0
		.amdhsa_system_sgpr_private_segment_wavefront_offset 0
		.amdhsa_system_sgpr_workgroup_id_x 1
		.amdhsa_system_sgpr_workgroup_id_y 0
		.amdhsa_system_sgpr_workgroup_id_z 0
		.amdhsa_system_sgpr_workgroup_info 0
		.amdhsa_system_vgpr_workitem_id 0
		.amdhsa_next_free_vgpr 45
		.amdhsa_next_free_sgpr 7
		.amdhsa_accum_offset 48
		.amdhsa_reserve_vcc 1
		.amdhsa_reserve_flat_scratch 0
		.amdhsa_float_round_mode_32 0
		.amdhsa_float_round_mode_16_64 0
		.amdhsa_float_denorm_mode_32 3
		.amdhsa_float_denorm_mode_16_64 3
		.amdhsa_dx10_clamp 1
		.amdhsa_ieee_mode 1
		.amdhsa_fp16_overflow 0
		.amdhsa_tg_split 0
		.amdhsa_exception_fp_ieee_invalid_op 0
		.amdhsa_exception_fp_denorm_src 0
		.amdhsa_exception_fp_ieee_div_zero 0
		.amdhsa_exception_fp_ieee_overflow 0
		.amdhsa_exception_fp_ieee_underflow 0
		.amdhsa_exception_fp_ieee_inexact 0
		.amdhsa_exception_int_div_zero 0
	.end_amdhsa_kernel
	.section	.text._Z16warp_load_kernelILj256ELj32ELj32ELN6hipcub17WarpLoadAlgorithmE1EiEvPT3_S3_,"axG",@progbits,_Z16warp_load_kernelILj256ELj32ELj32ELN6hipcub17WarpLoadAlgorithmE1EiEvPT3_S3_,comdat
.Lfunc_end13:
	.size	_Z16warp_load_kernelILj256ELj32ELj32ELN6hipcub17WarpLoadAlgorithmE1EiEvPT3_S3_, .Lfunc_end13-_Z16warp_load_kernelILj256ELj32ELj32ELN6hipcub17WarpLoadAlgorithmE1EiEvPT3_S3_
                                        ; -- End function
	.section	.AMDGPU.csdata,"",@progbits
; Kernel info:
; codeLenInByte = 1556
; NumSgprs: 11
; NumVgprs: 45
; NumAgprs: 0
; TotalNumVgprs: 45
; ScratchSize: 0
; MemoryBound: 0
; FloatMode: 240
; IeeeMode: 1
; LDSByteSize: 0 bytes/workgroup (compile time only)
; SGPRBlocks: 1
; VGPRBlocks: 5
; NumSGPRsForWavesPerEU: 11
; NumVGPRsForWavesPerEU: 45
; AccumOffset: 48
; Occupancy: 8
; WaveLimiterHint : 1
; COMPUTE_PGM_RSRC2:SCRATCH_EN: 0
; COMPUTE_PGM_RSRC2:USER_SGPR: 6
; COMPUTE_PGM_RSRC2:TRAP_HANDLER: 0
; COMPUTE_PGM_RSRC2:TGID_X_EN: 1
; COMPUTE_PGM_RSRC2:TGID_Y_EN: 0
; COMPUTE_PGM_RSRC2:TGID_Z_EN: 0
; COMPUTE_PGM_RSRC2:TIDIG_COMP_CNT: 0
; COMPUTE_PGM_RSRC3_GFX90A:ACCUM_OFFSET: 11
; COMPUTE_PGM_RSRC3_GFX90A:TG_SPLIT: 0
	.section	.text._Z16warp_load_kernelILj256ELj32ELj32ELN6hipcub17WarpLoadAlgorithmE2EiEvPT3_S3_,"axG",@progbits,_Z16warp_load_kernelILj256ELj32ELj32ELN6hipcub17WarpLoadAlgorithmE2EiEvPT3_S3_,comdat
	.protected	_Z16warp_load_kernelILj256ELj32ELj32ELN6hipcub17WarpLoadAlgorithmE2EiEvPT3_S3_ ; -- Begin function _Z16warp_load_kernelILj256ELj32ELj32ELN6hipcub17WarpLoadAlgorithmE2EiEvPT3_S3_
	.globl	_Z16warp_load_kernelILj256ELj32ELj32ELN6hipcub17WarpLoadAlgorithmE2EiEvPT3_S3_
	.p2align	8
	.type	_Z16warp_load_kernelILj256ELj32ELj32ELN6hipcub17WarpLoadAlgorithmE2EiEvPT3_S3_,@function
_Z16warp_load_kernelILj256ELj32ELj32ELN6hipcub17WarpLoadAlgorithmE2EiEvPT3_S3_: ; @_Z16warp_load_kernelILj256ELj32ELj32ELN6hipcub17WarpLoadAlgorithmE2EiEvPT3_S3_
; %bb.0:
	s_load_dwordx4 s[0:3], s[4:5], 0x0
	v_lshlrev_b32_e32 v2, 5, v0
	s_lshl_b32 s4, s6, 13
	v_and_b32_e32 v2, 0x1c00, v2
	v_mbcnt_lo_u32_b32 v1, -1, 0
	v_or_b32_e32 v4, s4, v2
	v_mov_b32_e32 v5, 0
	v_mbcnt_hi_u32_b32 v1, -1, v1
	v_lshlrev_b64 v[2:3], 2, v[4:5]
	s_waitcnt lgkmcnt(0)
	v_mov_b32_e32 v4, s1
	v_add_co_u32_e32 v2, vcc, s0, v2
	v_lshlrev_b32_e32 v1, 7, v1
	v_addc_co_u32_e32 v3, vcc, v4, v3, vcc
	v_and_b32_e32 v1, 0xf80, v1
	v_add_co_u32_e32 v34, vcc, v2, v1
	v_addc_co_u32_e32 v35, vcc, 0, v3, vcc
	global_load_dwordx4 v[6:9], v[34:35], off
	global_load_dwordx4 v[10:13], v[34:35], off offset:16
	global_load_dwordx4 v[14:17], v[34:35], off offset:32
	global_load_dwordx4 v[18:21], v[34:35], off offset:48
	v_or_b32_e32 v4, s4, v0
	v_lshlrev_b64 v[30:31], 2, v[4:5]
	v_mov_b32_e32 v1, v5
	v_or_b32_e32 v0, 0x400, v4
	v_mov_b32_e32 v32, s3
	v_add_co_u32_e32 v38, vcc, s2, v30
	v_lshlrev_b64 v[0:1], 2, v[0:1]
	v_addc_co_u32_e32 v39, vcc, v32, v31, vcc
	v_mov_b32_e32 v3, v5
	v_or_b32_e32 v2, 0x500, v4
	v_mov_b32_e32 v33, s3
	v_add_co_u32_e32 v40, vcc, s2, v0
	v_lshlrev_b64 v[2:3], 2, v[2:3]
	v_addc_co_u32_e32 v41, vcc, v33, v1, vcc
	;; [unrolled: 6-line block ×6, first 2 shown]
	global_load_dwordx4 v[22:25], v[34:35], off offset:80
	global_load_dwordx4 v[26:29], v[34:35], off offset:64
	;; [unrolled: 1-line block ×4, first 2 shown]
	s_waitcnt vmcnt(7)
	global_store_dword v[38:39], v6, off
	global_store_dword v[38:39], v7, off offset:1024
	global_store_dword v[38:39], v8, off offset:2048
	global_store_dword v[38:39], v9, off offset:3072
	s_waitcnt vmcnt(10)
	global_store_dword v[40:41], v10, off
	global_store_dword v[42:43], v11, off
	;; [unrolled: 1-line block ×4, first 2 shown]
	s_waitcnt vmcnt(13)
	global_store_dword v[48:49], v14, off
	v_mov_b32_e32 v7, s3
	v_add_co_u32_e32 v6, vcc, s2, v36
	v_addc_co_u32_e32 v7, vcc, v7, v37, vcc
	global_store_dword v[6:7], v15, off
	v_or_b32_e32 v6, 0xa00, v4
	v_mov_b32_e32 v7, v5
	v_lshlrev_b64 v[6:7], 2, v[6:7]
	v_mov_b32_e32 v8, s3
	v_add_co_u32_e32 v6, vcc, s2, v6
	v_addc_co_u32_e32 v7, vcc, v8, v7, vcc
	global_store_dword v[6:7], v16, off
	v_or_b32_e32 v6, 0xb00, v4
	v_mov_b32_e32 v7, v5
	v_lshlrev_b64 v[6:7], 2, v[6:7]
	v_add_co_u32_e32 v6, vcc, s2, v6
	v_addc_co_u32_e32 v7, vcc, v8, v7, vcc
	global_store_dword v[6:7], v17, off
	v_or_b32_e32 v6, 0xc00, v4
	v_mov_b32_e32 v7, v5
	v_lshlrev_b64 v[6:7], 2, v[6:7]
	v_add_co_u32_e32 v6, vcc, s2, v6
	v_addc_co_u32_e32 v7, vcc, v8, v7, vcc
	s_waitcnt vmcnt(16)
	global_store_dword v[6:7], v18, off
	v_or_b32_e32 v6, 0xd00, v4
	v_mov_b32_e32 v7, v5
	v_lshlrev_b64 v[6:7], 2, v[6:7]
	v_add_co_u32_e32 v6, vcc, s2, v6
	v_addc_co_u32_e32 v7, vcc, v8, v7, vcc
	global_store_dword v[6:7], v19, off
	v_or_b32_e32 v6, 0xe00, v4
	v_mov_b32_e32 v7, v5
	v_lshlrev_b64 v[6:7], 2, v[6:7]
	v_add_co_u32_e32 v6, vcc, s2, v6
	v_addc_co_u32_e32 v7, vcc, v8, v7, vcc
	;; [unrolled: 6-line block ×4, first 2 shown]
	s_waitcnt vmcnt(18)
	global_store_dword v[6:7], v26, off
	v_or_b32_e32 v6, 0x1100, v4
	v_mov_b32_e32 v7, v5
	v_lshlrev_b64 v[6:7], 2, v[6:7]
	v_add_co_u32_e32 v6, vcc, s2, v6
	v_addc_co_u32_e32 v7, vcc, v8, v7, vcc
	global_store_dword v[6:7], v27, off
	v_or_b32_e32 v6, 0x1200, v4
	v_mov_b32_e32 v7, v5
	v_lshlrev_b64 v[6:7], 2, v[6:7]
	v_add_co_u32_e32 v6, vcc, s2, v6
	v_addc_co_u32_e32 v7, vcc, v8, v7, vcc
	;; [unrolled: 6-line block ×8, first 2 shown]
	s_waitcnt vmcnt(24)
	global_store_dword v[6:7], v30, off
	v_or_b32_e32 v6, 0x1900, v4
	v_mov_b32_e32 v7, v5
	v_lshlrev_b64 v[6:7], 2, v[6:7]
	v_add_co_u32_e32 v6, vcc, s2, v6
	v_addc_co_u32_e32 v7, vcc, v8, v7, vcc
	global_store_dword v[6:7], v31, off
	v_or_b32_e32 v6, 0x1a00, v4
	v_mov_b32_e32 v7, v5
	v_lshlrev_b64 v[6:7], 2, v[6:7]
	v_add_co_u32_e32 v6, vcc, s2, v6
	v_addc_co_u32_e32 v7, vcc, v8, v7, vcc
	;; [unrolled: 6-line block ×4, first 2 shown]
	global_store_dword v[6:7], v0, off
	v_or_b32_e32 v6, 0x1d00, v4
	v_mov_b32_e32 v7, v5
	v_lshlrev_b64 v[6:7], 2, v[6:7]
	v_mov_b32_e32 v0, s3
	v_add_co_u32_e32 v6, vcc, s2, v6
	v_addc_co_u32_e32 v7, vcc, v0, v7, vcc
	global_store_dword v[6:7], v1, off
	v_or_b32_e32 v0, 0x1e00, v4
	v_mov_b32_e32 v1, v5
	v_lshlrev_b64 v[0:1], 2, v[0:1]
	v_mov_b32_e32 v6, s3
	v_add_co_u32_e32 v0, vcc, s2, v0
	v_addc_co_u32_e32 v1, vcc, v6, v1, vcc
	v_or_b32_e32 v4, 0x1f00, v4
	global_store_dword v[0:1], v2, off
	v_lshlrev_b64 v[0:1], 2, v[4:5]
	v_mov_b32_e32 v2, s3
	v_add_co_u32_e32 v0, vcc, s2, v0
	v_addc_co_u32_e32 v1, vcc, v2, v1, vcc
	global_store_dword v[0:1], v3, off
	s_endpgm
	.section	.rodata,"a",@progbits
	.p2align	6, 0x0
	.amdhsa_kernel _Z16warp_load_kernelILj256ELj32ELj32ELN6hipcub17WarpLoadAlgorithmE2EiEvPT3_S3_
		.amdhsa_group_segment_fixed_size 0
		.amdhsa_private_segment_fixed_size 0
		.amdhsa_kernarg_size 16
		.amdhsa_user_sgpr_count 6
		.amdhsa_user_sgpr_private_segment_buffer 1
		.amdhsa_user_sgpr_dispatch_ptr 0
		.amdhsa_user_sgpr_queue_ptr 0
		.amdhsa_user_sgpr_kernarg_segment_ptr 1
		.amdhsa_user_sgpr_dispatch_id 0
		.amdhsa_user_sgpr_flat_scratch_init 0
		.amdhsa_user_sgpr_kernarg_preload_length 0
		.amdhsa_user_sgpr_kernarg_preload_offset 0
		.amdhsa_user_sgpr_private_segment_size 0
		.amdhsa_uses_dynamic_stack 0
		.amdhsa_system_sgpr_private_segment_wavefront_offset 0
		.amdhsa_system_sgpr_workgroup_id_x 1
		.amdhsa_system_sgpr_workgroup_id_y 0
		.amdhsa_system_sgpr_workgroup_id_z 0
		.amdhsa_system_sgpr_workgroup_info 0
		.amdhsa_system_vgpr_workitem_id 0
		.amdhsa_next_free_vgpr 50
		.amdhsa_next_free_sgpr 7
		.amdhsa_accum_offset 52
		.amdhsa_reserve_vcc 1
		.amdhsa_reserve_flat_scratch 0
		.amdhsa_float_round_mode_32 0
		.amdhsa_float_round_mode_16_64 0
		.amdhsa_float_denorm_mode_32 3
		.amdhsa_float_denorm_mode_16_64 3
		.amdhsa_dx10_clamp 1
		.amdhsa_ieee_mode 1
		.amdhsa_fp16_overflow 0
		.amdhsa_tg_split 0
		.amdhsa_exception_fp_ieee_invalid_op 0
		.amdhsa_exception_fp_denorm_src 0
		.amdhsa_exception_fp_ieee_div_zero 0
		.amdhsa_exception_fp_ieee_overflow 0
		.amdhsa_exception_fp_ieee_underflow 0
		.amdhsa_exception_fp_ieee_inexact 0
		.amdhsa_exception_int_div_zero 0
	.end_amdhsa_kernel
	.section	.text._Z16warp_load_kernelILj256ELj32ELj32ELN6hipcub17WarpLoadAlgorithmE2EiEvPT3_S3_,"axG",@progbits,_Z16warp_load_kernelILj256ELj32ELj32ELN6hipcub17WarpLoadAlgorithmE2EiEvPT3_S3_,comdat
.Lfunc_end14:
	.size	_Z16warp_load_kernelILj256ELj32ELj32ELN6hipcub17WarpLoadAlgorithmE2EiEvPT3_S3_, .Lfunc_end14-_Z16warp_load_kernelILj256ELj32ELj32ELN6hipcub17WarpLoadAlgorithmE2EiEvPT3_S3_
                                        ; -- End function
	.section	.AMDGPU.csdata,"",@progbits
; Kernel info:
; codeLenInByte = 1284
; NumSgprs: 11
; NumVgprs: 50
; NumAgprs: 0
; TotalNumVgprs: 50
; ScratchSize: 0
; MemoryBound: 0
; FloatMode: 240
; IeeeMode: 1
; LDSByteSize: 0 bytes/workgroup (compile time only)
; SGPRBlocks: 1
; VGPRBlocks: 6
; NumSGPRsForWavesPerEU: 11
; NumVGPRsForWavesPerEU: 50
; AccumOffset: 52
; Occupancy: 8
; WaveLimiterHint : 1
; COMPUTE_PGM_RSRC2:SCRATCH_EN: 0
; COMPUTE_PGM_RSRC2:USER_SGPR: 6
; COMPUTE_PGM_RSRC2:TRAP_HANDLER: 0
; COMPUTE_PGM_RSRC2:TGID_X_EN: 1
; COMPUTE_PGM_RSRC2:TGID_Y_EN: 0
; COMPUTE_PGM_RSRC2:TGID_Z_EN: 0
; COMPUTE_PGM_RSRC2:TIDIG_COMP_CNT: 0
; COMPUTE_PGM_RSRC3_GFX90A:ACCUM_OFFSET: 12
; COMPUTE_PGM_RSRC3_GFX90A:TG_SPLIT: 0
	.section	.text._Z16warp_load_kernelILj256ELj32ELj32ELN6hipcub17WarpLoadAlgorithmE3EiEvPT3_S3_,"axG",@progbits,_Z16warp_load_kernelILj256ELj32ELj32ELN6hipcub17WarpLoadAlgorithmE3EiEvPT3_S3_,comdat
	.protected	_Z16warp_load_kernelILj256ELj32ELj32ELN6hipcub17WarpLoadAlgorithmE3EiEvPT3_S3_ ; -- Begin function _Z16warp_load_kernelILj256ELj32ELj32ELN6hipcub17WarpLoadAlgorithmE3EiEvPT3_S3_
	.globl	_Z16warp_load_kernelILj256ELj32ELj32ELN6hipcub17WarpLoadAlgorithmE3EiEvPT3_S3_
	.p2align	8
	.type	_Z16warp_load_kernelILj256ELj32ELj32ELN6hipcub17WarpLoadAlgorithmE3EiEvPT3_S3_,@function
_Z16warp_load_kernelILj256ELj32ELj32ELN6hipcub17WarpLoadAlgorithmE3EiEvPT3_S3_: ; @_Z16warp_load_kernelILj256ELj32ELj32ELN6hipcub17WarpLoadAlgorithmE3EiEvPT3_S3_
; %bb.0:
	s_load_dwordx4 s[0:3], s[4:5], 0x0
	v_lshrrev_b32_e32 v1, 5, v0
	v_mbcnt_lo_u32_b32 v2, -1, 0
	s_lshl_b32 s4, s6, 13
	v_mbcnt_hi_u32_b32 v2, -1, v2
	v_lshl_or_b32 v8, v1, 10, s4
	v_mov_b32_e32 v9, 0
	v_and_b32_e32 v4, 31, v2
	v_lshlrev_b64 v[2:3], 2, v[8:9]
	s_waitcnt lgkmcnt(0)
	v_mov_b32_e32 v5, s1
	v_add_co_u32_e32 v2, vcc, s0, v2
	v_addc_co_u32_e32 v3, vcc, v5, v3, vcc
	v_lshlrev_b32_e32 v5, 2, v4
	v_add_co_u32_e32 v2, vcc, v2, v5
	v_addc_co_u32_e32 v3, vcc, 0, v3, vcc
	global_load_dword v6, v[2:3], off
	global_load_dword v7, v[2:3], off offset:128
	global_load_dword v10, v[2:3], off offset:256
	global_load_dword v11, v[2:3], off offset:384
	global_load_dword v12, v[2:3], off offset:512
	global_load_dword v13, v[2:3], off offset:640
	global_load_dword v14, v[2:3], off offset:768
	global_load_dword v15, v[2:3], off offset:896
	global_load_dword v16, v[2:3], off offset:1024
	global_load_dword v17, v[2:3], off offset:1152
	global_load_dword v18, v[2:3], off offset:1280
	global_load_dword v19, v[2:3], off offset:1408
	global_load_dword v20, v[2:3], off offset:1536
	global_load_dword v21, v[2:3], off offset:1664
	global_load_dword v22, v[2:3], off offset:1792
	global_load_dword v23, v[2:3], off offset:1920
	global_load_dword v24, v[2:3], off offset:2048
	global_load_dword v25, v[2:3], off offset:2176
	global_load_dword v26, v[2:3], off offset:2304
	global_load_dword v27, v[2:3], off offset:2432
	global_load_dword v28, v[2:3], off offset:2560
	global_load_dword v29, v[2:3], off offset:2688
	global_load_dword v30, v[2:3], off offset:2816
	global_load_dword v31, v[2:3], off offset:2944
	global_load_dword v32, v[2:3], off offset:3072
	global_load_dword v33, v[2:3], off offset:3200
	global_load_dword v36, v[2:3], off offset:3328
	global_load_dword v37, v[2:3], off offset:3456
	global_load_dword v38, v[2:3], off offset:3584
	global_load_dword v39, v[2:3], off offset:3712
	global_load_dword v40, v[2:3], off offset:3840
	global_load_dword v41, v[2:3], off offset:3968
	v_or_b32_e32 v8, s4, v0
	s_movk_i32 s0, 0x7c
	v_lshl_or_b32 v2, v1, 12, v5
	v_lshlrev_b64 v[0:1], 2, v[8:9]
	v_add_u32_e32 v3, 0x400, v2
	v_add_u32_e32 v5, 0x800, v2
	v_mad_u32_u24 v43, v4, s0, v2
	v_mov_b32_e32 v4, s3
	v_add_co_u32_e32 v34, vcc, s2, v0
	v_add_u32_e32 v42, 0xc00, v2
	v_addc_co_u32_e32 v35, vcc, v4, v1, vcc
	s_waitcnt vmcnt(30)
	ds_write2_b32 v2, v6, v7 offset1:32
	s_waitcnt vmcnt(28)
	ds_write2_b32 v2, v10, v11 offset0:64 offset1:96
	s_waitcnt vmcnt(26)
	ds_write2_b32 v2, v12, v13 offset0:128 offset1:160
	s_waitcnt vmcnt(24)
	ds_write2_b32 v2, v14, v15 offset0:192 offset1:224
	s_waitcnt vmcnt(22)
	ds_write2_b32 v3, v16, v17 offset1:32
	s_waitcnt vmcnt(20)
	ds_write2_b32 v3, v18, v19 offset0:64 offset1:96
	s_waitcnt vmcnt(18)
	ds_write2_b32 v3, v20, v21 offset0:128 offset1:160
	s_waitcnt vmcnt(16)
	ds_write2_b32 v3, v22, v23 offset0:192 offset1:224
	;; [unrolled: 8-line block ×4, first 2 shown]
	; wave barrier
	ds_read_b128 v[10:13], v43
	ds_read_b128 v[14:17], v43 offset:16
	ds_read_b128 v[18:21], v43 offset:32
	;; [unrolled: 1-line block ×7, first 2 shown]
	s_waitcnt lgkmcnt(7)
	global_store_dword v[34:35], v10, off
	global_store_dword v[34:35], v11, off offset:1024
	global_store_dword v[34:35], v12, off offset:2048
	;; [unrolled: 1-line block ×3, first 2 shown]
	v_or_b32_e32 v10, 0x400, v8
	v_mov_b32_e32 v11, v9
	v_lshlrev_b64 v[10:11], 2, v[10:11]
	v_mov_b32_e32 v12, s3
	v_add_co_u32_e32 v10, vcc, s2, v10
	v_addc_co_u32_e32 v11, vcc, v12, v11, vcc
	s_waitcnt lgkmcnt(6)
	global_store_dword v[10:11], v14, off
	v_or_b32_e32 v10, 0x500, v8
	v_mov_b32_e32 v11, v9
	v_lshlrev_b64 v[10:11], 2, v[10:11]
	v_add_co_u32_e32 v10, vcc, s2, v10
	v_addc_co_u32_e32 v11, vcc, v12, v11, vcc
	global_store_dword v[10:11], v15, off
	v_or_b32_e32 v10, 0x600, v8
	v_mov_b32_e32 v11, v9
	v_lshlrev_b64 v[10:11], 2, v[10:11]
	v_add_co_u32_e32 v10, vcc, s2, v10
	v_addc_co_u32_e32 v11, vcc, v12, v11, vcc
	global_store_dword v[10:11], v16, off
	v_or_b32_e32 v10, 0x700, v8
	v_mov_b32_e32 v11, v9
	v_lshlrev_b64 v[10:11], 2, v[10:11]
	v_add_co_u32_e32 v10, vcc, s2, v10
	v_addc_co_u32_e32 v11, vcc, v12, v11, vcc
	global_store_dword v[10:11], v17, off
	v_or_b32_e32 v10, 0x800, v8
	v_mov_b32_e32 v11, v9
	v_lshlrev_b64 v[10:11], 2, v[10:11]
	v_add_co_u32_e32 v10, vcc, s2, v10
	v_addc_co_u32_e32 v11, vcc, v12, v11, vcc
	s_waitcnt lgkmcnt(5)
	global_store_dword v[10:11], v18, off
	v_or_b32_e32 v10, 0x900, v8
	v_mov_b32_e32 v11, v9
	v_lshlrev_b64 v[10:11], 2, v[10:11]
	v_add_co_u32_e32 v10, vcc, s2, v10
	v_addc_co_u32_e32 v11, vcc, v12, v11, vcc
	global_store_dword v[10:11], v19, off
	v_or_b32_e32 v10, 0xa00, v8
	v_mov_b32_e32 v11, v9
	v_lshlrev_b64 v[10:11], 2, v[10:11]
	v_add_co_u32_e32 v10, vcc, s2, v10
	v_addc_co_u32_e32 v11, vcc, v12, v11, vcc
	global_store_dword v[10:11], v20, off
	v_or_b32_e32 v10, 0xb00, v8
	v_mov_b32_e32 v11, v9
	v_lshlrev_b64 v[10:11], 2, v[10:11]
	v_add_co_u32_e32 v10, vcc, s2, v10
	v_addc_co_u32_e32 v11, vcc, v12, v11, vcc
	global_store_dword v[10:11], v21, off
	v_or_b32_e32 v10, 0xc00, v8
	v_mov_b32_e32 v11, v9
	v_lshlrev_b64 v[10:11], 2, v[10:11]
	;; [unrolled: 25-line block ×5, first 2 shown]
	v_add_co_u32_e32 v10, vcc, s2, v10
	v_addc_co_u32_e32 v11, vcc, v12, v11, vcc
	s_waitcnt lgkmcnt(1)
	global_store_dword v[10:11], v4, off
	v_or_b32_e32 v10, 0x1900, v8
	v_mov_b32_e32 v11, v9
	v_lshlrev_b64 v[10:11], 2, v[10:11]
	v_mov_b32_e32 v4, s3
	v_add_co_u32_e32 v10, vcc, s2, v10
	v_addc_co_u32_e32 v11, vcc, v4, v11, vcc
	global_store_dword v[10:11], v5, off
	v_or_b32_e32 v4, 0x1a00, v8
	v_mov_b32_e32 v5, v9
	v_lshlrev_b64 v[4:5], 2, v[4:5]
	v_mov_b32_e32 v10, s3
	v_add_co_u32_e32 v4, vcc, s2, v4
	v_addc_co_u32_e32 v5, vcc, v10, v5, vcc
	;; [unrolled: 7-line block ×3, first 2 shown]
	global_store_dword v[4:5], v7, off
	v_or_b32_e32 v4, 0x1c00, v8
	v_mov_b32_e32 v5, v9
	v_lshlrev_b64 v[4:5], 2, v[4:5]
	v_add_co_u32_e32 v4, vcc, s2, v4
	v_addc_co_u32_e32 v5, vcc, v6, v5, vcc
	s_waitcnt lgkmcnt(0)
	global_store_dword v[4:5], v0, off
	v_or_b32_e32 v4, 0x1d00, v8
	v_mov_b32_e32 v5, v9
	v_lshlrev_b64 v[4:5], 2, v[4:5]
	v_mov_b32_e32 v0, s3
	v_add_co_u32_e32 v4, vcc, s2, v4
	v_addc_co_u32_e32 v5, vcc, v0, v5, vcc
	global_store_dword v[4:5], v1, off
	v_or_b32_e32 v0, 0x1e00, v8
	v_mov_b32_e32 v1, v9
	v_lshlrev_b64 v[0:1], 2, v[0:1]
	v_mov_b32_e32 v4, s3
	v_add_co_u32_e32 v0, vcc, s2, v0
	v_addc_co_u32_e32 v1, vcc, v4, v1, vcc
	v_or_b32_e32 v8, 0x1f00, v8
	global_store_dword v[0:1], v2, off
	v_lshlrev_b64 v[0:1], 2, v[8:9]
	v_mov_b32_e32 v2, s3
	v_add_co_u32_e32 v0, vcc, s2, v0
	v_addc_co_u32_e32 v1, vcc, v2, v1, vcc
	global_store_dword v[0:1], v3, off
	s_endpgm
	.section	.rodata,"a",@progbits
	.p2align	6, 0x0
	.amdhsa_kernel _Z16warp_load_kernelILj256ELj32ELj32ELN6hipcub17WarpLoadAlgorithmE3EiEvPT3_S3_
		.amdhsa_group_segment_fixed_size 32768
		.amdhsa_private_segment_fixed_size 0
		.amdhsa_kernarg_size 16
		.amdhsa_user_sgpr_count 6
		.amdhsa_user_sgpr_private_segment_buffer 1
		.amdhsa_user_sgpr_dispatch_ptr 0
		.amdhsa_user_sgpr_queue_ptr 0
		.amdhsa_user_sgpr_kernarg_segment_ptr 1
		.amdhsa_user_sgpr_dispatch_id 0
		.amdhsa_user_sgpr_flat_scratch_init 0
		.amdhsa_user_sgpr_kernarg_preload_length 0
		.amdhsa_user_sgpr_kernarg_preload_offset 0
		.amdhsa_user_sgpr_private_segment_size 0
		.amdhsa_uses_dynamic_stack 0
		.amdhsa_system_sgpr_private_segment_wavefront_offset 0
		.amdhsa_system_sgpr_workgroup_id_x 1
		.amdhsa_system_sgpr_workgroup_id_y 0
		.amdhsa_system_sgpr_workgroup_id_z 0
		.amdhsa_system_sgpr_workgroup_info 0
		.amdhsa_system_vgpr_workitem_id 0
		.amdhsa_next_free_vgpr 44
		.amdhsa_next_free_sgpr 7
		.amdhsa_accum_offset 44
		.amdhsa_reserve_vcc 1
		.amdhsa_reserve_flat_scratch 0
		.amdhsa_float_round_mode_32 0
		.amdhsa_float_round_mode_16_64 0
		.amdhsa_float_denorm_mode_32 3
		.amdhsa_float_denorm_mode_16_64 3
		.amdhsa_dx10_clamp 1
		.amdhsa_ieee_mode 1
		.amdhsa_fp16_overflow 0
		.amdhsa_tg_split 0
		.amdhsa_exception_fp_ieee_invalid_op 0
		.amdhsa_exception_fp_denorm_src 0
		.amdhsa_exception_fp_ieee_div_zero 0
		.amdhsa_exception_fp_ieee_overflow 0
		.amdhsa_exception_fp_ieee_underflow 0
		.amdhsa_exception_fp_ieee_inexact 0
		.amdhsa_exception_int_div_zero 0
	.end_amdhsa_kernel
	.section	.text._Z16warp_load_kernelILj256ELj32ELj32ELN6hipcub17WarpLoadAlgorithmE3EiEvPT3_S3_,"axG",@progbits,_Z16warp_load_kernelILj256ELj32ELj32ELN6hipcub17WarpLoadAlgorithmE3EiEvPT3_S3_,comdat
.Lfunc_end15:
	.size	_Z16warp_load_kernelILj256ELj32ELj32ELN6hipcub17WarpLoadAlgorithmE3EiEvPT3_S3_, .Lfunc_end15-_Z16warp_load_kernelILj256ELj32ELj32ELN6hipcub17WarpLoadAlgorithmE3EiEvPT3_S3_
                                        ; -- End function
	.section	.AMDGPU.csdata,"",@progbits
; Kernel info:
; codeLenInByte = 1764
; NumSgprs: 11
; NumVgprs: 44
; NumAgprs: 0
; TotalNumVgprs: 44
; ScratchSize: 0
; MemoryBound: 1
; FloatMode: 240
; IeeeMode: 1
; LDSByteSize: 32768 bytes/workgroup (compile time only)
; SGPRBlocks: 1
; VGPRBlocks: 5
; NumSGPRsForWavesPerEU: 11
; NumVGPRsForWavesPerEU: 44
; AccumOffset: 44
; Occupancy: 2
; WaveLimiterHint : 1
; COMPUTE_PGM_RSRC2:SCRATCH_EN: 0
; COMPUTE_PGM_RSRC2:USER_SGPR: 6
; COMPUTE_PGM_RSRC2:TRAP_HANDLER: 0
; COMPUTE_PGM_RSRC2:TGID_X_EN: 1
; COMPUTE_PGM_RSRC2:TGID_Y_EN: 0
; COMPUTE_PGM_RSRC2:TGID_Z_EN: 0
; COMPUTE_PGM_RSRC2:TIDIG_COMP_CNT: 0
; COMPUTE_PGM_RSRC3_GFX90A:ACCUM_OFFSET: 10
; COMPUTE_PGM_RSRC3_GFX90A:TG_SPLIT: 0
	.section	.text._Z16warp_load_kernelILj256ELj64ELj32ELN6hipcub17WarpLoadAlgorithmE0EiEvPT3_S3_,"axG",@progbits,_Z16warp_load_kernelILj256ELj64ELj32ELN6hipcub17WarpLoadAlgorithmE0EiEvPT3_S3_,comdat
	.protected	_Z16warp_load_kernelILj256ELj64ELj32ELN6hipcub17WarpLoadAlgorithmE0EiEvPT3_S3_ ; -- Begin function _Z16warp_load_kernelILj256ELj64ELj32ELN6hipcub17WarpLoadAlgorithmE0EiEvPT3_S3_
	.globl	_Z16warp_load_kernelILj256ELj64ELj32ELN6hipcub17WarpLoadAlgorithmE0EiEvPT3_S3_
	.p2align	8
	.type	_Z16warp_load_kernelILj256ELj64ELj32ELN6hipcub17WarpLoadAlgorithmE0EiEvPT3_S3_,@function
_Z16warp_load_kernelILj256ELj64ELj32ELN6hipcub17WarpLoadAlgorithmE0EiEvPT3_S3_: ; @_Z16warp_load_kernelILj256ELj64ELj32ELN6hipcub17WarpLoadAlgorithmE0EiEvPT3_S3_
; %bb.0:
	s_load_dwordx4 s[0:3], s[4:5], 0x0
	v_lshlrev_b32_e32 v2, 6, v0
	s_lshl_b32 s4, s6, 14
	v_and_b32_e32 v2, 0x3800, v2
	v_mbcnt_lo_u32_b32 v1, -1, 0
	v_or_b32_e32 v44, s4, v2
	v_mov_b32_e32 v45, 0
	v_mbcnt_hi_u32_b32 v1, -1, v1
	v_lshlrev_b64 v[2:3], 2, v[44:45]
	s_waitcnt lgkmcnt(0)
	v_mov_b32_e32 v4, s1
	v_add_co_u32_e32 v2, vcc, s0, v2
	v_lshlrev_b32_e32 v1, 8, v1
	v_addc_co_u32_e32 v3, vcc, v4, v3, vcc
	v_and_b32_e32 v1, 0x1f00, v1
	v_add_co_u32_e32 v66, vcc, v2, v1
	v_addc_co_u32_e32 v67, vcc, 0, v3, vcc
	global_load_dwordx4 v[46:49], v[66:67], off
	global_load_dwordx4 v[50:53], v[66:67], off offset:16
	v_or_b32_e32 v44, s4, v0
	v_lshlrev_b64 v[0:1], 2, v[44:45]
	v_mov_b32_e32 v2, s3
	v_add_co_u32_e32 v68, vcc, s2, v0
	v_addc_co_u32_e32 v69, vcc, v2, v1, vcc
	global_load_dwordx4 v[54:57], v[66:67], off offset:48
	global_load_dwordx4 v[58:61], v[66:67], off offset:32
	;; [unrolled: 1-line block ×14, first 2 shown]
	v_mov_b32_e32 v66, s3
	v_mov_b32_e32 v67, v45
	v_mov_b32_e32 v70, s3
	s_waitcnt vmcnt(15)
	global_store_dword v[68:69], v46, off
	global_store_dword v[68:69], v47, off offset:1024
	global_store_dword v[68:69], v48, off offset:2048
	;; [unrolled: 1-line block ×3, first 2 shown]
	v_mov_b32_e32 v47, v45
	v_or_b32_e32 v46, 0x400, v44
	v_lshlrev_b64 v[46:47], 2, v[46:47]
	v_mov_b32_e32 v48, s3
	v_add_co_u32_e32 v46, vcc, s2, v46
	v_addc_co_u32_e32 v47, vcc, v48, v47, vcc
	v_mov_b32_e32 v49, v45
	v_or_b32_e32 v48, 0x500, v44
	v_lshlrev_b64 v[48:49], 2, v[48:49]
	v_add_co_u32_e32 v48, vcc, s2, v48
	v_addc_co_u32_e32 v49, vcc, v66, v49, vcc
	v_or_b32_e32 v66, 0x600, v44
	v_lshlrev_b64 v[66:67], 2, v[66:67]
	v_mov_b32_e32 v68, s3
	v_add_co_u32_e32 v66, vcc, s2, v66
	v_addc_co_u32_e32 v67, vcc, v68, v67, vcc
	v_mov_b32_e32 v69, v45
	v_or_b32_e32 v68, 0x700, v44
	v_lshlrev_b64 v[68:69], 2, v[68:69]
	v_add_co_u32_e32 v68, vcc, s2, v68
	s_waitcnt vmcnt(18)
	global_store_dword v[46:47], v50, off
	global_store_dword v[48:49], v51, off
	v_mov_b32_e32 v47, v45
	v_or_b32_e32 v46, 0x800, v44
	v_addc_co_u32_e32 v69, vcc, v70, v69, vcc
	v_lshlrev_b64 v[46:47], 2, v[46:47]
	v_mov_b32_e32 v48, s3
	v_add_co_u32_e32 v46, vcc, s2, v46
	v_addc_co_u32_e32 v47, vcc, v48, v47, vcc
	v_or_b32_e32 v48, 0x900, v44
	v_mov_b32_e32 v49, v45
	v_lshlrev_b64 v[48:49], 2, v[48:49]
	v_mov_b32_e32 v50, s3
	v_add_co_u32_e32 v48, vcc, s2, v48
	v_addc_co_u32_e32 v49, vcc, v50, v49, vcc
	v_or_b32_e32 v50, 0xa00, v44
	v_mov_b32_e32 v51, v45
	v_lshlrev_b64 v[50:51], 2, v[50:51]
	global_store_dword v[66:67], v52, off
	v_mov_b32_e32 v52, s3
	v_add_co_u32_e32 v50, vcc, s2, v50
	global_store_dword v[68:69], v53, off
	v_addc_co_u32_e32 v51, vcc, v52, v51, vcc
	v_or_b32_e32 v52, 0xb00, v44
	v_mov_b32_e32 v53, v45
	v_lshlrev_b64 v[52:53], 2, v[52:53]
	v_mov_b32_e32 v66, s3
	v_add_co_u32_e32 v52, vcc, s2, v52
	v_addc_co_u32_e32 v53, vcc, v66, v53, vcc
	s_waitcnt vmcnt(20)
	global_store_dword v[46:47], v58, off
	global_store_dword v[48:49], v59, off
	;; [unrolled: 1-line block ×4, first 2 shown]
	v_or_b32_e32 v46, 0xc00, v44
	v_mov_b32_e32 v47, v45
	v_lshlrev_b64 v[46:47], 2, v[46:47]
	v_mov_b32_e32 v48, s3
	v_add_co_u32_e32 v46, vcc, s2, v46
	v_addc_co_u32_e32 v47, vcc, v48, v47, vcc
	v_or_b32_e32 v48, 0xd00, v44
	v_mov_b32_e32 v49, v45
	v_lshlrev_b64 v[48:49], 2, v[48:49]
	v_mov_b32_e32 v50, s3
	v_add_co_u32_e32 v48, vcc, s2, v48
	v_addc_co_u32_e32 v49, vcc, v50, v49, vcc
	;; [unrolled: 6-line block ×4, first 2 shown]
	global_store_dword v[46:47], v54, off
	global_store_dword v[48:49], v55, off
	;; [unrolled: 1-line block ×4, first 2 shown]
	v_or_b32_e32 v46, 0x1000, v44
	v_mov_b32_e32 v47, v45
	v_lshlrev_b64 v[46:47], 2, v[46:47]
	v_mov_b32_e32 v48, s3
	v_add_co_u32_e32 v46, vcc, s2, v46
	v_addc_co_u32_e32 v47, vcc, v48, v47, vcc
	v_or_b32_e32 v48, 0x1100, v44
	v_mov_b32_e32 v49, v45
	v_lshlrev_b64 v[48:49], 2, v[48:49]
	v_mov_b32_e32 v50, s3
	v_add_co_u32_e32 v48, vcc, s2, v48
	v_addc_co_u32_e32 v49, vcc, v50, v49, vcc
	;; [unrolled: 6-line block ×4, first 2 shown]
	s_waitcnt vmcnt(24)
	global_store_dword v[46:47], v62, off
	global_store_dword v[48:49], v63, off
	global_store_dword v[50:51], v64, off
	global_store_dword v[52:53], v65, off
	v_or_b32_e32 v46, 0x1400, v44
	v_mov_b32_e32 v47, v45
	v_lshlrev_b64 v[46:47], 2, v[46:47]
	v_mov_b32_e32 v48, s3
	v_add_co_u32_e32 v46, vcc, s2, v46
	v_addc_co_u32_e32 v47, vcc, v48, v47, vcc
	global_store_dword v[46:47], v40, off
	v_or_b32_e32 v46, 0x1500, v44
	v_mov_b32_e32 v47, v45
	v_lshlrev_b64 v[46:47], 2, v[46:47]
	v_mov_b32_e32 v40, s3
	v_add_co_u32_e32 v46, vcc, s2, v46
	v_addc_co_u32_e32 v47, vcc, v40, v47, vcc
	global_store_dword v[46:47], v41, off
	;; [unrolled: 7-line block ×4, first 2 shown]
	v_or_b32_e32 v40, 0x1800, v44
	v_mov_b32_e32 v41, v45
	v_lshlrev_b64 v[40:41], 2, v[40:41]
	v_add_co_u32_e32 v40, vcc, s2, v40
	v_addc_co_u32_e32 v41, vcc, v42, v41, vcc
	global_store_dword v[40:41], v36, off
	v_or_b32_e32 v40, 0x1900, v44
	v_mov_b32_e32 v41, v45
	v_lshlrev_b64 v[40:41], 2, v[40:41]
	v_mov_b32_e32 v36, s3
	v_add_co_u32_e32 v40, vcc, s2, v40
	v_addc_co_u32_e32 v41, vcc, v36, v41, vcc
	global_store_dword v[40:41], v37, off
	v_or_b32_e32 v36, 0x1a00, v44
	v_mov_b32_e32 v37, v45
	v_lshlrev_b64 v[36:37], 2, v[36:37]
	v_mov_b32_e32 v40, s3
	;; [unrolled: 7-line block ×3, first 2 shown]
	v_add_co_u32_e32 v36, vcc, s2, v36
	v_addc_co_u32_e32 v37, vcc, v38, v37, vcc
	global_store_dword v[36:37], v39, off
	v_or_b32_e32 v36, 0x1c00, v44
	v_mov_b32_e32 v37, v45
	v_lshlrev_b64 v[36:37], 2, v[36:37]
	v_add_co_u32_e32 v36, vcc, s2, v36
	v_addc_co_u32_e32 v37, vcc, v38, v37, vcc
	global_store_dword v[36:37], v32, off
	v_or_b32_e32 v36, 0x1d00, v44
	v_mov_b32_e32 v37, v45
	v_lshlrev_b64 v[36:37], 2, v[36:37]
	v_mov_b32_e32 v32, s3
	v_add_co_u32_e32 v36, vcc, s2, v36
	v_addc_co_u32_e32 v37, vcc, v32, v37, vcc
	global_store_dword v[36:37], v33, off
	v_or_b32_e32 v32, 0x1e00, v44
	v_mov_b32_e32 v33, v45
	v_lshlrev_b64 v[32:33], 2, v[32:33]
	v_mov_b32_e32 v36, s3
	v_add_co_u32_e32 v32, vcc, s2, v32
	v_addc_co_u32_e32 v33, vcc, v36, v33, vcc
	global_store_dword v[32:33], v34, off
	v_or_b32_e32 v32, 0x1f00, v44
	v_mov_b32_e32 v33, v45
	v_lshlrev_b64 v[32:33], 2, v[32:33]
	v_mov_b32_e32 v34, s3
	v_add_co_u32_e32 v32, vcc, s2, v32
	v_addc_co_u32_e32 v33, vcc, v34, v33, vcc
	global_store_dword v[32:33], v35, off
	v_or_b32_e32 v32, 0x2000, v44
	v_mov_b32_e32 v33, v45
	v_lshlrev_b64 v[32:33], 2, v[32:33]
	v_add_co_u32_e32 v32, vcc, s2, v32
	v_addc_co_u32_e32 v33, vcc, v34, v33, vcc
	s_waitcnt vmcnt(36)
	global_store_dword v[32:33], v28, off
	v_or_b32_e32 v32, 0x2100, v44
	v_mov_b32_e32 v33, v45
	v_lshlrev_b64 v[32:33], 2, v[32:33]
	v_mov_b32_e32 v28, s3
	v_add_co_u32_e32 v32, vcc, s2, v32
	v_addc_co_u32_e32 v33, vcc, v28, v33, vcc
	global_store_dword v[32:33], v29, off
	v_or_b32_e32 v28, 0x2200, v44
	v_mov_b32_e32 v29, v45
	v_lshlrev_b64 v[28:29], 2, v[28:29]
	v_mov_b32_e32 v32, s3
	v_add_co_u32_e32 v28, vcc, s2, v28
	v_addc_co_u32_e32 v29, vcc, v32, v29, vcc
	global_store_dword v[28:29], v30, off
	v_or_b32_e32 v28, 0x2300, v44
	v_mov_b32_e32 v29, v45
	v_lshlrev_b64 v[28:29], 2, v[28:29]
	v_mov_b32_e32 v30, s3
	v_add_co_u32_e32 v28, vcc, s2, v28
	v_addc_co_u32_e32 v29, vcc, v30, v29, vcc
	global_store_dword v[28:29], v31, off
	v_or_b32_e32 v28, 0x2400, v44
	v_mov_b32_e32 v29, v45
	v_lshlrev_b64 v[28:29], 2, v[28:29]
	v_add_co_u32_e32 v28, vcc, s2, v28
	v_addc_co_u32_e32 v29, vcc, v30, v29, vcc
	global_store_dword v[28:29], v24, off
	v_or_b32_e32 v28, 0x2500, v44
	v_mov_b32_e32 v29, v45
	v_lshlrev_b64 v[28:29], 2, v[28:29]
	v_mov_b32_e32 v24, s3
	v_add_co_u32_e32 v28, vcc, s2, v28
	v_addc_co_u32_e32 v29, vcc, v24, v29, vcc
	global_store_dword v[28:29], v25, off
	v_or_b32_e32 v24, 0x2600, v44
	v_mov_b32_e32 v25, v45
	v_lshlrev_b64 v[24:25], 2, v[24:25]
	v_mov_b32_e32 v28, s3
	v_add_co_u32_e32 v24, vcc, s2, v24
	v_addc_co_u32_e32 v25, vcc, v28, v25, vcc
	global_store_dword v[24:25], v26, off
	v_or_b32_e32 v24, 0x2700, v44
	v_mov_b32_e32 v25, v45
	v_lshlrev_b64 v[24:25], 2, v[24:25]
	v_mov_b32_e32 v26, s3
	v_add_co_u32_e32 v24, vcc, s2, v24
	v_addc_co_u32_e32 v25, vcc, v26, v25, vcc
	global_store_dword v[24:25], v27, off
	v_or_b32_e32 v24, 0x2800, v44
	v_mov_b32_e32 v25, v45
	v_lshlrev_b64 v[24:25], 2, v[24:25]
	v_add_co_u32_e32 v24, vcc, s2, v24
	v_addc_co_u32_e32 v25, vcc, v26, v25, vcc
	;; [unrolled: 27-line block ×4, first 2 shown]
	s_waitcnt vmcnt(48)
	global_store_dword v[16:17], v12, off
	v_or_b32_e32 v16, 0x3100, v44
	v_mov_b32_e32 v17, v45
	v_lshlrev_b64 v[16:17], 2, v[16:17]
	v_mov_b32_e32 v12, s3
	v_add_co_u32_e32 v16, vcc, s2, v16
	v_addc_co_u32_e32 v17, vcc, v12, v17, vcc
	global_store_dword v[16:17], v13, off
	v_or_b32_e32 v12, 0x3200, v44
	v_mov_b32_e32 v13, v45
	v_lshlrev_b64 v[12:13], 2, v[12:13]
	v_mov_b32_e32 v16, s3
	v_add_co_u32_e32 v12, vcc, s2, v12
	v_addc_co_u32_e32 v13, vcc, v16, v13, vcc
	global_store_dword v[12:13], v14, off
	v_or_b32_e32 v12, 0x3300, v44
	v_mov_b32_e32 v13, v45
	v_lshlrev_b64 v[12:13], 2, v[12:13]
	v_mov_b32_e32 v14, s3
	v_add_co_u32_e32 v12, vcc, s2, v12
	v_addc_co_u32_e32 v13, vcc, v14, v13, vcc
	global_store_dword v[12:13], v15, off
	v_or_b32_e32 v12, 0x3400, v44
	v_mov_b32_e32 v13, v45
	v_lshlrev_b64 v[12:13], 2, v[12:13]
	v_add_co_u32_e32 v12, vcc, s2, v12
	v_addc_co_u32_e32 v13, vcc, v14, v13, vcc
	global_store_dword v[12:13], v8, off
	v_or_b32_e32 v12, 0x3500, v44
	v_mov_b32_e32 v13, v45
	v_lshlrev_b64 v[12:13], 2, v[12:13]
	v_mov_b32_e32 v8, s3
	v_add_co_u32_e32 v12, vcc, s2, v12
	v_addc_co_u32_e32 v13, vcc, v8, v13, vcc
	global_store_dword v[12:13], v9, off
	v_or_b32_e32 v8, 0x3600, v44
	v_mov_b32_e32 v9, v45
	v_lshlrev_b64 v[8:9], 2, v[8:9]
	v_mov_b32_e32 v12, s3
	v_add_co_u32_e32 v8, vcc, s2, v8
	v_addc_co_u32_e32 v9, vcc, v12, v9, vcc
	global_store_dword v[8:9], v10, off
	v_or_b32_e32 v8, 0x3700, v44
	v_mov_b32_e32 v9, v45
	v_lshlrev_b64 v[8:9], 2, v[8:9]
	v_mov_b32_e32 v10, s3
	v_add_co_u32_e32 v8, vcc, s2, v8
	v_addc_co_u32_e32 v9, vcc, v10, v9, vcc
	global_store_dword v[8:9], v11, off
	v_or_b32_e32 v8, 0x3800, v44
	v_mov_b32_e32 v9, v45
	v_lshlrev_b64 v[8:9], 2, v[8:9]
	v_add_co_u32_e32 v8, vcc, s2, v8
	v_addc_co_u32_e32 v9, vcc, v10, v9, vcc
	;; [unrolled: 27-line block ×3, first 2 shown]
	global_store_dword v[4:5], v0, off
	v_or_b32_e32 v4, 0x3d00, v44
	v_mov_b32_e32 v5, v45
	v_lshlrev_b64 v[4:5], 2, v[4:5]
	v_mov_b32_e32 v0, s3
	v_add_co_u32_e32 v4, vcc, s2, v4
	v_addc_co_u32_e32 v5, vcc, v0, v5, vcc
	global_store_dword v[4:5], v1, off
	v_or_b32_e32 v0, 0x3e00, v44
	v_mov_b32_e32 v1, v45
	v_lshlrev_b64 v[0:1], 2, v[0:1]
	v_mov_b32_e32 v4, s3
	v_add_co_u32_e32 v0, vcc, s2, v0
	v_addc_co_u32_e32 v1, vcc, v4, v1, vcc
	v_or_b32_e32 v44, 0x3f00, v44
	global_store_dword v[0:1], v2, off
	v_lshlrev_b64 v[0:1], 2, v[44:45]
	v_mov_b32_e32 v2, s3
	v_add_co_u32_e32 v0, vcc, s2, v0
	v_addc_co_u32_e32 v1, vcc, v2, v1, vcc
	global_store_dword v[0:1], v3, off
	s_endpgm
	.section	.rodata,"a",@progbits
	.p2align	6, 0x0
	.amdhsa_kernel _Z16warp_load_kernelILj256ELj64ELj32ELN6hipcub17WarpLoadAlgorithmE0EiEvPT3_S3_
		.amdhsa_group_segment_fixed_size 0
		.amdhsa_private_segment_fixed_size 0
		.amdhsa_kernarg_size 16
		.amdhsa_user_sgpr_count 6
		.amdhsa_user_sgpr_private_segment_buffer 1
		.amdhsa_user_sgpr_dispatch_ptr 0
		.amdhsa_user_sgpr_queue_ptr 0
		.amdhsa_user_sgpr_kernarg_segment_ptr 1
		.amdhsa_user_sgpr_dispatch_id 0
		.amdhsa_user_sgpr_flat_scratch_init 0
		.amdhsa_user_sgpr_kernarg_preload_length 0
		.amdhsa_user_sgpr_kernarg_preload_offset 0
		.amdhsa_user_sgpr_private_segment_size 0
		.amdhsa_uses_dynamic_stack 0
		.amdhsa_system_sgpr_private_segment_wavefront_offset 0
		.amdhsa_system_sgpr_workgroup_id_x 1
		.amdhsa_system_sgpr_workgroup_id_y 0
		.amdhsa_system_sgpr_workgroup_id_z 0
		.amdhsa_system_sgpr_workgroup_info 0
		.amdhsa_system_vgpr_workitem_id 0
		.amdhsa_next_free_vgpr 71
		.amdhsa_next_free_sgpr 7
		.amdhsa_accum_offset 72
		.amdhsa_reserve_vcc 1
		.amdhsa_reserve_flat_scratch 0
		.amdhsa_float_round_mode_32 0
		.amdhsa_float_round_mode_16_64 0
		.amdhsa_float_denorm_mode_32 3
		.amdhsa_float_denorm_mode_16_64 3
		.amdhsa_dx10_clamp 1
		.amdhsa_ieee_mode 1
		.amdhsa_fp16_overflow 0
		.amdhsa_tg_split 0
		.amdhsa_exception_fp_ieee_invalid_op 0
		.amdhsa_exception_fp_denorm_src 0
		.amdhsa_exception_fp_ieee_div_zero 0
		.amdhsa_exception_fp_ieee_overflow 0
		.amdhsa_exception_fp_ieee_underflow 0
		.amdhsa_exception_fp_ieee_inexact 0
		.amdhsa_exception_int_div_zero 0
	.end_amdhsa_kernel
	.section	.text._Z16warp_load_kernelILj256ELj64ELj32ELN6hipcub17WarpLoadAlgorithmE0EiEvPT3_S3_,"axG",@progbits,_Z16warp_load_kernelILj256ELj64ELj32ELN6hipcub17WarpLoadAlgorithmE0EiEvPT3_S3_,comdat
.Lfunc_end16:
	.size	_Z16warp_load_kernelILj256ELj64ELj32ELN6hipcub17WarpLoadAlgorithmE0EiEvPT3_S3_, .Lfunc_end16-_Z16warp_load_kernelILj256ELj64ELj32ELN6hipcub17WarpLoadAlgorithmE0EiEvPT3_S3_
                                        ; -- End function
	.section	.AMDGPU.csdata,"",@progbits
; Kernel info:
; codeLenInByte = 2660
; NumSgprs: 11
; NumVgprs: 71
; NumAgprs: 0
; TotalNumVgprs: 71
; ScratchSize: 0
; MemoryBound: 0
; FloatMode: 240
; IeeeMode: 1
; LDSByteSize: 0 bytes/workgroup (compile time only)
; SGPRBlocks: 1
; VGPRBlocks: 8
; NumSGPRsForWavesPerEU: 11
; NumVGPRsForWavesPerEU: 71
; AccumOffset: 72
; Occupancy: 7
; WaveLimiterHint : 1
; COMPUTE_PGM_RSRC2:SCRATCH_EN: 0
; COMPUTE_PGM_RSRC2:USER_SGPR: 6
; COMPUTE_PGM_RSRC2:TRAP_HANDLER: 0
; COMPUTE_PGM_RSRC2:TGID_X_EN: 1
; COMPUTE_PGM_RSRC2:TGID_Y_EN: 0
; COMPUTE_PGM_RSRC2:TGID_Z_EN: 0
; COMPUTE_PGM_RSRC2:TIDIG_COMP_CNT: 0
; COMPUTE_PGM_RSRC3_GFX90A:ACCUM_OFFSET: 17
; COMPUTE_PGM_RSRC3_GFX90A:TG_SPLIT: 0
	.section	.text._Z16warp_load_kernelILj256ELj64ELj32ELN6hipcub17WarpLoadAlgorithmE1EiEvPT3_S3_,"axG",@progbits,_Z16warp_load_kernelILj256ELj64ELj32ELN6hipcub17WarpLoadAlgorithmE1EiEvPT3_S3_,comdat
	.protected	_Z16warp_load_kernelILj256ELj64ELj32ELN6hipcub17WarpLoadAlgorithmE1EiEvPT3_S3_ ; -- Begin function _Z16warp_load_kernelILj256ELj64ELj32ELN6hipcub17WarpLoadAlgorithmE1EiEvPT3_S3_
	.globl	_Z16warp_load_kernelILj256ELj64ELj32ELN6hipcub17WarpLoadAlgorithmE1EiEvPT3_S3_
	.p2align	8
	.type	_Z16warp_load_kernelILj256ELj64ELj32ELN6hipcub17WarpLoadAlgorithmE1EiEvPT3_S3_,@function
_Z16warp_load_kernelILj256ELj64ELj32ELN6hipcub17WarpLoadAlgorithmE1EiEvPT3_S3_: ; @_Z16warp_load_kernelILj256ELj64ELj32ELN6hipcub17WarpLoadAlgorithmE1EiEvPT3_S3_
; %bb.0:
	s_load_dwordx4 s[0:3], s[4:5], 0x0
	v_lshlrev_b32_e32 v2, 6, v0
	s_lshl_b32 s4, s6, 14
	v_and_b32_e32 v2, 0x3800, v2
	v_mbcnt_lo_u32_b32 v1, -1, 0
	v_or_b32_e32 v2, s4, v2
	v_mov_b32_e32 v3, 0
	v_mbcnt_hi_u32_b32 v1, -1, v1
	v_lshlrev_b64 v[4:5], 2, v[2:3]
	v_and_b32_e32 v1, 31, v1
	s_waitcnt lgkmcnt(0)
	v_mov_b32_e32 v2, s1
	v_add_co_u32_e32 v4, vcc, s0, v4
	v_addc_co_u32_e32 v2, vcc, v2, v5, vcc
	v_lshlrev_b32_e32 v1, 2, v1
	v_add_co_u32_e32 v4, vcc, v4, v1
	v_addc_co_u32_e32 v5, vcc, 0, v2, vcc
	global_load_dword v22, v[4:5], off
	global_load_dword v23, v[4:5], off offset:128
	global_load_dword v24, v[4:5], off offset:256
	;; [unrolled: 1-line block ×31, first 2 shown]
	s_movk_i32 s0, 0x1000
	v_add_co_u32_e32 v18, vcc, s0, v4
	v_or_b32_e32 v2, s4, v0
	v_addc_co_u32_e32 v19, vcc, 0, v5, vcc
	v_lshlrev_b64 v[0:1], 2, v[2:3]
	v_mov_b32_e32 v4, s3
	v_add_co_u32_e32 v20, vcc, s2, v0
	global_load_dword v54, v[18:19], off
	global_load_dword v55, v[18:19], off offset:128
	global_load_dword v56, v[18:19], off offset:256
	global_load_dword v57, v[18:19], off offset:384
	global_load_dword v58, v[18:19], off offset:512
	global_load_dword v59, v[18:19], off offset:640
	global_load_dword v60, v[18:19], off offset:768
	global_load_dword v61, v[18:19], off offset:896
	v_addc_co_u32_e32 v21, vcc, v4, v1, vcc
	global_load_dword v62, v[18:19], off offset:1024
	global_load_dword v63, v[18:19], off offset:1152
	;; [unrolled: 1-line block ×24, first 2 shown]
	v_or_b32_e32 v18, 0x400, v2
	v_mov_b32_e32 v19, v3
	v_lshlrev_b64 v[18:19], 2, v[18:19]
	v_add_co_u32_e32 v18, vcc, s2, v18
	s_waitcnt vmcnt(62)
	global_store_dword v[20:21], v22, off
	global_store_dword v[20:21], v23, off offset:1024
	s_waitcnt vmcnt(62)
	global_store_dword v[20:21], v24, off offset:2048
	global_store_dword v[20:21], v25, off offset:3072
	v_mov_b32_e32 v20, s3
	v_addc_co_u32_e32 v19, vcc, v20, v19, vcc
	s_waitcnt vmcnt(62)
	global_store_dword v[18:19], v26, off
	v_or_b32_e32 v18, 0x500, v2
	v_mov_b32_e32 v19, v3
	v_lshlrev_b64 v[18:19], 2, v[18:19]
	v_add_co_u32_e32 v18, vcc, s2, v18
	v_addc_co_u32_e32 v19, vcc, v20, v19, vcc
	global_store_dword v[18:19], v27, off
	v_or_b32_e32 v18, 0x600, v2
	v_mov_b32_e32 v19, v3
	v_lshlrev_b64 v[18:19], 2, v[18:19]
	v_add_co_u32_e32 v18, vcc, s2, v18
	v_addc_co_u32_e32 v19, vcc, v20, v19, vcc
	s_waitcnt vmcnt(62)
	global_store_dword v[18:19], v28, off
	v_or_b32_e32 v18, 0x700, v2
	v_mov_b32_e32 v19, v3
	v_lshlrev_b64 v[18:19], 2, v[18:19]
	v_add_co_u32_e32 v18, vcc, s2, v18
	v_addc_co_u32_e32 v19, vcc, v20, v19, vcc
	global_store_dword v[18:19], v29, off
	v_or_b32_e32 v18, 0x800, v2
	v_mov_b32_e32 v19, v3
	v_lshlrev_b64 v[18:19], 2, v[18:19]
	v_add_co_u32_e32 v18, vcc, s2, v18
	;; [unrolled: 13-line block ×22, first 2 shown]
	v_addc_co_u32_e32 v19, vcc, v20, v19, vcc
	s_waitcnt vmcnt(62)
	global_store_dword v[18:19], v17, off
	v_or_b32_e32 v18, 0x3100, v2
	v_mov_b32_e32 v19, v3
	v_lshlrev_b64 v[18:19], 2, v[18:19]
	v_mov_b32_e32 v17, s3
	v_add_co_u32_e32 v18, vcc, s2, v18
	v_addc_co_u32_e32 v19, vcc, v17, v19, vcc
	global_store_dword v[18:19], v16, off
	v_or_b32_e32 v16, 0x3200, v2
	v_mov_b32_e32 v17, v3
	v_lshlrev_b64 v[16:17], 2, v[16:17]
	v_mov_b32_e32 v18, s3
	v_add_co_u32_e32 v16, vcc, s2, v16
	v_addc_co_u32_e32 v17, vcc, v18, v17, vcc
	s_waitcnt vmcnt(62)
	global_store_dword v[16:17], v15, off
	v_or_b32_e32 v16, 0x3300, v2
	v_mov_b32_e32 v17, v3
	v_lshlrev_b64 v[16:17], 2, v[16:17]
	v_mov_b32_e32 v15, s3
	v_add_co_u32_e32 v16, vcc, s2, v16
	v_addc_co_u32_e32 v17, vcc, v15, v17, vcc
	global_store_dword v[16:17], v14, off
	v_or_b32_e32 v14, 0x3400, v2
	v_mov_b32_e32 v15, v3
	v_lshlrev_b64 v[14:15], 2, v[14:15]
	v_mov_b32_e32 v16, s3
	v_add_co_u32_e32 v14, vcc, s2, v14
	;; [unrolled: 15-line block ×7, first 2 shown]
	v_or_b32_e32 v2, 0x3f00, v2
	v_addc_co_u32_e32 v5, vcc, v6, v5, vcc
	v_lshlrev_b64 v[2:3], 2, v[2:3]
	s_waitcnt vmcnt(62)
	global_store_dword v[4:5], v1, off
	v_mov_b32_e32 v1, s3
	v_add_co_u32_e32 v2, vcc, s2, v2
	v_addc_co_u32_e32 v3, vcc, v1, v3, vcc
	global_store_dword v[2:3], v0, off
	s_endpgm
	.section	.rodata,"a",@progbits
	.p2align	6, 0x0
	.amdhsa_kernel _Z16warp_load_kernelILj256ELj64ELj32ELN6hipcub17WarpLoadAlgorithmE1EiEvPT3_S3_
		.amdhsa_group_segment_fixed_size 0
		.amdhsa_private_segment_fixed_size 0
		.amdhsa_kernarg_size 16
		.amdhsa_user_sgpr_count 6
		.amdhsa_user_sgpr_private_segment_buffer 1
		.amdhsa_user_sgpr_dispatch_ptr 0
		.amdhsa_user_sgpr_queue_ptr 0
		.amdhsa_user_sgpr_kernarg_segment_ptr 1
		.amdhsa_user_sgpr_dispatch_id 0
		.amdhsa_user_sgpr_flat_scratch_init 0
		.amdhsa_user_sgpr_kernarg_preload_length 0
		.amdhsa_user_sgpr_kernarg_preload_offset 0
		.amdhsa_user_sgpr_private_segment_size 0
		.amdhsa_uses_dynamic_stack 0
		.amdhsa_system_sgpr_private_segment_wavefront_offset 0
		.amdhsa_system_sgpr_workgroup_id_x 1
		.amdhsa_system_sgpr_workgroup_id_y 0
		.amdhsa_system_sgpr_workgroup_id_z 0
		.amdhsa_system_sgpr_workgroup_info 0
		.amdhsa_system_vgpr_workitem_id 0
		.amdhsa_next_free_vgpr 70
		.amdhsa_next_free_sgpr 7
		.amdhsa_accum_offset 72
		.amdhsa_reserve_vcc 1
		.amdhsa_reserve_flat_scratch 0
		.amdhsa_float_round_mode_32 0
		.amdhsa_float_round_mode_16_64 0
		.amdhsa_float_denorm_mode_32 3
		.amdhsa_float_denorm_mode_16_64 3
		.amdhsa_dx10_clamp 1
		.amdhsa_ieee_mode 1
		.amdhsa_fp16_overflow 0
		.amdhsa_tg_split 0
		.amdhsa_exception_fp_ieee_invalid_op 0
		.amdhsa_exception_fp_denorm_src 0
		.amdhsa_exception_fp_ieee_div_zero 0
		.amdhsa_exception_fp_ieee_overflow 0
		.amdhsa_exception_fp_ieee_underflow 0
		.amdhsa_exception_fp_ieee_inexact 0
		.amdhsa_exception_int_div_zero 0
	.end_amdhsa_kernel
	.section	.text._Z16warp_load_kernelILj256ELj64ELj32ELN6hipcub17WarpLoadAlgorithmE1EiEvPT3_S3_,"axG",@progbits,_Z16warp_load_kernelILj256ELj64ELj32ELN6hipcub17WarpLoadAlgorithmE1EiEvPT3_S3_,comdat
.Lfunc_end17:
	.size	_Z16warp_load_kernelILj256ELj64ELj32ELN6hipcub17WarpLoadAlgorithmE1EiEvPT3_S3_, .Lfunc_end17-_Z16warp_load_kernelILj256ELj64ELj32ELN6hipcub17WarpLoadAlgorithmE1EiEvPT3_S3_
                                        ; -- End function
	.section	.AMDGPU.csdata,"",@progbits
; Kernel info:
; codeLenInByte = 3020
; NumSgprs: 11
; NumVgprs: 70
; NumAgprs: 0
; TotalNumVgprs: 70
; ScratchSize: 0
; MemoryBound: 0
; FloatMode: 240
; IeeeMode: 1
; LDSByteSize: 0 bytes/workgroup (compile time only)
; SGPRBlocks: 1
; VGPRBlocks: 8
; NumSGPRsForWavesPerEU: 11
; NumVGPRsForWavesPerEU: 70
; AccumOffset: 72
; Occupancy: 7
; WaveLimiterHint : 1
; COMPUTE_PGM_RSRC2:SCRATCH_EN: 0
; COMPUTE_PGM_RSRC2:USER_SGPR: 6
; COMPUTE_PGM_RSRC2:TRAP_HANDLER: 0
; COMPUTE_PGM_RSRC2:TGID_X_EN: 1
; COMPUTE_PGM_RSRC2:TGID_Y_EN: 0
; COMPUTE_PGM_RSRC2:TGID_Z_EN: 0
; COMPUTE_PGM_RSRC2:TIDIG_COMP_CNT: 0
; COMPUTE_PGM_RSRC3_GFX90A:ACCUM_OFFSET: 17
; COMPUTE_PGM_RSRC3_GFX90A:TG_SPLIT: 0
	.section	.text._Z16warp_load_kernelILj256ELj64ELj32ELN6hipcub17WarpLoadAlgorithmE2EiEvPT3_S3_,"axG",@progbits,_Z16warp_load_kernelILj256ELj64ELj32ELN6hipcub17WarpLoadAlgorithmE2EiEvPT3_S3_,comdat
	.protected	_Z16warp_load_kernelILj256ELj64ELj32ELN6hipcub17WarpLoadAlgorithmE2EiEvPT3_S3_ ; -- Begin function _Z16warp_load_kernelILj256ELj64ELj32ELN6hipcub17WarpLoadAlgorithmE2EiEvPT3_S3_
	.globl	_Z16warp_load_kernelILj256ELj64ELj32ELN6hipcub17WarpLoadAlgorithmE2EiEvPT3_S3_
	.p2align	8
	.type	_Z16warp_load_kernelILj256ELj64ELj32ELN6hipcub17WarpLoadAlgorithmE2EiEvPT3_S3_,@function
_Z16warp_load_kernelILj256ELj64ELj32ELN6hipcub17WarpLoadAlgorithmE2EiEvPT3_S3_: ; @_Z16warp_load_kernelILj256ELj64ELj32ELN6hipcub17WarpLoadAlgorithmE2EiEvPT3_S3_
; %bb.0:
	s_load_dwordx4 s[0:3], s[4:5], 0x0
	v_lshlrev_b32_e32 v2, 6, v0
	s_lshl_b32 s4, s6, 14
	v_and_b32_e32 v2, 0x3800, v2
	v_mbcnt_lo_u32_b32 v1, -1, 0
	v_or_b32_e32 v44, s4, v2
	v_mov_b32_e32 v45, 0
	v_mbcnt_hi_u32_b32 v1, -1, v1
	v_lshlrev_b64 v[2:3], 2, v[44:45]
	s_waitcnt lgkmcnt(0)
	v_mov_b32_e32 v4, s1
	v_add_co_u32_e32 v2, vcc, s0, v2
	v_lshlrev_b32_e32 v1, 8, v1
	v_addc_co_u32_e32 v3, vcc, v4, v3, vcc
	v_and_b32_e32 v1, 0x1f00, v1
	v_add_co_u32_e32 v66, vcc, v2, v1
	v_addc_co_u32_e32 v67, vcc, 0, v3, vcc
	global_load_dwordx4 v[46:49], v[66:67], off
	global_load_dwordx4 v[50:53], v[66:67], off offset:16
	v_or_b32_e32 v44, s4, v0
	v_lshlrev_b64 v[0:1], 2, v[44:45]
	v_mov_b32_e32 v2, s3
	v_add_co_u32_e32 v68, vcc, s2, v0
	v_addc_co_u32_e32 v69, vcc, v2, v1, vcc
	global_load_dwordx4 v[54:57], v[66:67], off offset:48
	global_load_dwordx4 v[58:61], v[66:67], off offset:32
	;; [unrolled: 1-line block ×14, first 2 shown]
	v_mov_b32_e32 v66, s3
	v_mov_b32_e32 v67, v45
	;; [unrolled: 1-line block ×3, first 2 shown]
	s_waitcnt vmcnt(15)
	global_store_dword v[68:69], v46, off
	global_store_dword v[68:69], v47, off offset:1024
	global_store_dword v[68:69], v48, off offset:2048
	;; [unrolled: 1-line block ×3, first 2 shown]
	v_mov_b32_e32 v47, v45
	v_or_b32_e32 v46, 0x400, v44
	v_lshlrev_b64 v[46:47], 2, v[46:47]
	v_mov_b32_e32 v48, s3
	v_add_co_u32_e32 v46, vcc, s2, v46
	v_addc_co_u32_e32 v47, vcc, v48, v47, vcc
	v_mov_b32_e32 v49, v45
	v_or_b32_e32 v48, 0x500, v44
	v_lshlrev_b64 v[48:49], 2, v[48:49]
	v_add_co_u32_e32 v48, vcc, s2, v48
	v_addc_co_u32_e32 v49, vcc, v66, v49, vcc
	v_or_b32_e32 v66, 0x600, v44
	v_lshlrev_b64 v[66:67], 2, v[66:67]
	v_mov_b32_e32 v68, s3
	v_add_co_u32_e32 v66, vcc, s2, v66
	v_addc_co_u32_e32 v67, vcc, v68, v67, vcc
	v_mov_b32_e32 v69, v45
	v_or_b32_e32 v68, 0x700, v44
	v_lshlrev_b64 v[68:69], 2, v[68:69]
	v_add_co_u32_e32 v68, vcc, s2, v68
	s_waitcnt vmcnt(18)
	global_store_dword v[46:47], v50, off
	global_store_dword v[48:49], v51, off
	v_mov_b32_e32 v47, v45
	v_or_b32_e32 v46, 0x800, v44
	v_addc_co_u32_e32 v69, vcc, v70, v69, vcc
	v_lshlrev_b64 v[46:47], 2, v[46:47]
	v_mov_b32_e32 v48, s3
	v_add_co_u32_e32 v46, vcc, s2, v46
	v_addc_co_u32_e32 v47, vcc, v48, v47, vcc
	v_or_b32_e32 v48, 0x900, v44
	v_mov_b32_e32 v49, v45
	v_lshlrev_b64 v[48:49], 2, v[48:49]
	v_mov_b32_e32 v50, s3
	v_add_co_u32_e32 v48, vcc, s2, v48
	v_addc_co_u32_e32 v49, vcc, v50, v49, vcc
	v_or_b32_e32 v50, 0xa00, v44
	v_mov_b32_e32 v51, v45
	v_lshlrev_b64 v[50:51], 2, v[50:51]
	global_store_dword v[66:67], v52, off
	v_mov_b32_e32 v52, s3
	v_add_co_u32_e32 v50, vcc, s2, v50
	global_store_dword v[68:69], v53, off
	v_addc_co_u32_e32 v51, vcc, v52, v51, vcc
	v_or_b32_e32 v52, 0xb00, v44
	v_mov_b32_e32 v53, v45
	v_lshlrev_b64 v[52:53], 2, v[52:53]
	v_mov_b32_e32 v66, s3
	v_add_co_u32_e32 v52, vcc, s2, v52
	v_addc_co_u32_e32 v53, vcc, v66, v53, vcc
	s_waitcnt vmcnt(20)
	global_store_dword v[46:47], v58, off
	global_store_dword v[48:49], v59, off
	;; [unrolled: 1-line block ×4, first 2 shown]
	v_or_b32_e32 v46, 0xc00, v44
	v_mov_b32_e32 v47, v45
	v_lshlrev_b64 v[46:47], 2, v[46:47]
	v_mov_b32_e32 v48, s3
	v_add_co_u32_e32 v46, vcc, s2, v46
	v_addc_co_u32_e32 v47, vcc, v48, v47, vcc
	v_or_b32_e32 v48, 0xd00, v44
	v_mov_b32_e32 v49, v45
	v_lshlrev_b64 v[48:49], 2, v[48:49]
	v_mov_b32_e32 v50, s3
	v_add_co_u32_e32 v48, vcc, s2, v48
	v_addc_co_u32_e32 v49, vcc, v50, v49, vcc
	;; [unrolled: 6-line block ×4, first 2 shown]
	global_store_dword v[46:47], v54, off
	global_store_dword v[48:49], v55, off
	global_store_dword v[50:51], v56, off
	global_store_dword v[52:53], v57, off
	v_or_b32_e32 v46, 0x1000, v44
	v_mov_b32_e32 v47, v45
	v_lshlrev_b64 v[46:47], 2, v[46:47]
	v_mov_b32_e32 v48, s3
	v_add_co_u32_e32 v46, vcc, s2, v46
	v_addc_co_u32_e32 v47, vcc, v48, v47, vcc
	v_or_b32_e32 v48, 0x1100, v44
	v_mov_b32_e32 v49, v45
	v_lshlrev_b64 v[48:49], 2, v[48:49]
	v_mov_b32_e32 v50, s3
	v_add_co_u32_e32 v48, vcc, s2, v48
	v_addc_co_u32_e32 v49, vcc, v50, v49, vcc
	;; [unrolled: 6-line block ×4, first 2 shown]
	s_waitcnt vmcnt(24)
	global_store_dword v[46:47], v62, off
	global_store_dword v[48:49], v63, off
	;; [unrolled: 1-line block ×4, first 2 shown]
	v_or_b32_e32 v46, 0x1400, v44
	v_mov_b32_e32 v47, v45
	v_lshlrev_b64 v[46:47], 2, v[46:47]
	v_mov_b32_e32 v48, s3
	v_add_co_u32_e32 v46, vcc, s2, v46
	v_addc_co_u32_e32 v47, vcc, v48, v47, vcc
	global_store_dword v[46:47], v40, off
	v_or_b32_e32 v46, 0x1500, v44
	v_mov_b32_e32 v47, v45
	v_lshlrev_b64 v[46:47], 2, v[46:47]
	v_mov_b32_e32 v40, s3
	v_add_co_u32_e32 v46, vcc, s2, v46
	v_addc_co_u32_e32 v47, vcc, v40, v47, vcc
	global_store_dword v[46:47], v41, off
	;; [unrolled: 7-line block ×4, first 2 shown]
	v_or_b32_e32 v40, 0x1800, v44
	v_mov_b32_e32 v41, v45
	v_lshlrev_b64 v[40:41], 2, v[40:41]
	v_add_co_u32_e32 v40, vcc, s2, v40
	v_addc_co_u32_e32 v41, vcc, v42, v41, vcc
	global_store_dword v[40:41], v36, off
	v_or_b32_e32 v40, 0x1900, v44
	v_mov_b32_e32 v41, v45
	v_lshlrev_b64 v[40:41], 2, v[40:41]
	v_mov_b32_e32 v36, s3
	v_add_co_u32_e32 v40, vcc, s2, v40
	v_addc_co_u32_e32 v41, vcc, v36, v41, vcc
	global_store_dword v[40:41], v37, off
	v_or_b32_e32 v36, 0x1a00, v44
	v_mov_b32_e32 v37, v45
	v_lshlrev_b64 v[36:37], 2, v[36:37]
	v_mov_b32_e32 v40, s3
	;; [unrolled: 7-line block ×3, first 2 shown]
	v_add_co_u32_e32 v36, vcc, s2, v36
	v_addc_co_u32_e32 v37, vcc, v38, v37, vcc
	global_store_dword v[36:37], v39, off
	v_or_b32_e32 v36, 0x1c00, v44
	v_mov_b32_e32 v37, v45
	v_lshlrev_b64 v[36:37], 2, v[36:37]
	v_add_co_u32_e32 v36, vcc, s2, v36
	v_addc_co_u32_e32 v37, vcc, v38, v37, vcc
	global_store_dword v[36:37], v32, off
	v_or_b32_e32 v36, 0x1d00, v44
	v_mov_b32_e32 v37, v45
	v_lshlrev_b64 v[36:37], 2, v[36:37]
	v_mov_b32_e32 v32, s3
	v_add_co_u32_e32 v36, vcc, s2, v36
	v_addc_co_u32_e32 v37, vcc, v32, v37, vcc
	global_store_dword v[36:37], v33, off
	v_or_b32_e32 v32, 0x1e00, v44
	v_mov_b32_e32 v33, v45
	v_lshlrev_b64 v[32:33], 2, v[32:33]
	v_mov_b32_e32 v36, s3
	;; [unrolled: 7-line block ×3, first 2 shown]
	v_add_co_u32_e32 v32, vcc, s2, v32
	v_addc_co_u32_e32 v33, vcc, v34, v33, vcc
	global_store_dword v[32:33], v35, off
	v_or_b32_e32 v32, 0x2000, v44
	v_mov_b32_e32 v33, v45
	v_lshlrev_b64 v[32:33], 2, v[32:33]
	v_add_co_u32_e32 v32, vcc, s2, v32
	v_addc_co_u32_e32 v33, vcc, v34, v33, vcc
	s_waitcnt vmcnt(36)
	global_store_dword v[32:33], v28, off
	v_or_b32_e32 v32, 0x2100, v44
	v_mov_b32_e32 v33, v45
	v_lshlrev_b64 v[32:33], 2, v[32:33]
	v_mov_b32_e32 v28, s3
	v_add_co_u32_e32 v32, vcc, s2, v32
	v_addc_co_u32_e32 v33, vcc, v28, v33, vcc
	global_store_dword v[32:33], v29, off
	v_or_b32_e32 v28, 0x2200, v44
	v_mov_b32_e32 v29, v45
	v_lshlrev_b64 v[28:29], 2, v[28:29]
	v_mov_b32_e32 v32, s3
	v_add_co_u32_e32 v28, vcc, s2, v28
	v_addc_co_u32_e32 v29, vcc, v32, v29, vcc
	global_store_dword v[28:29], v30, off
	v_or_b32_e32 v28, 0x2300, v44
	v_mov_b32_e32 v29, v45
	v_lshlrev_b64 v[28:29], 2, v[28:29]
	v_mov_b32_e32 v30, s3
	v_add_co_u32_e32 v28, vcc, s2, v28
	v_addc_co_u32_e32 v29, vcc, v30, v29, vcc
	global_store_dword v[28:29], v31, off
	v_or_b32_e32 v28, 0x2400, v44
	v_mov_b32_e32 v29, v45
	v_lshlrev_b64 v[28:29], 2, v[28:29]
	v_add_co_u32_e32 v28, vcc, s2, v28
	v_addc_co_u32_e32 v29, vcc, v30, v29, vcc
	global_store_dword v[28:29], v24, off
	v_or_b32_e32 v28, 0x2500, v44
	v_mov_b32_e32 v29, v45
	v_lshlrev_b64 v[28:29], 2, v[28:29]
	v_mov_b32_e32 v24, s3
	v_add_co_u32_e32 v28, vcc, s2, v28
	v_addc_co_u32_e32 v29, vcc, v24, v29, vcc
	global_store_dword v[28:29], v25, off
	v_or_b32_e32 v24, 0x2600, v44
	v_mov_b32_e32 v25, v45
	v_lshlrev_b64 v[24:25], 2, v[24:25]
	v_mov_b32_e32 v28, s3
	v_add_co_u32_e32 v24, vcc, s2, v24
	v_addc_co_u32_e32 v25, vcc, v28, v25, vcc
	global_store_dword v[24:25], v26, off
	v_or_b32_e32 v24, 0x2700, v44
	v_mov_b32_e32 v25, v45
	v_lshlrev_b64 v[24:25], 2, v[24:25]
	v_mov_b32_e32 v26, s3
	v_add_co_u32_e32 v24, vcc, s2, v24
	v_addc_co_u32_e32 v25, vcc, v26, v25, vcc
	global_store_dword v[24:25], v27, off
	v_or_b32_e32 v24, 0x2800, v44
	v_mov_b32_e32 v25, v45
	v_lshlrev_b64 v[24:25], 2, v[24:25]
	v_add_co_u32_e32 v24, vcc, s2, v24
	v_addc_co_u32_e32 v25, vcc, v26, v25, vcc
	;; [unrolled: 27-line block ×4, first 2 shown]
	s_waitcnt vmcnt(48)
	global_store_dword v[16:17], v12, off
	v_or_b32_e32 v16, 0x3100, v44
	v_mov_b32_e32 v17, v45
	v_lshlrev_b64 v[16:17], 2, v[16:17]
	v_mov_b32_e32 v12, s3
	v_add_co_u32_e32 v16, vcc, s2, v16
	v_addc_co_u32_e32 v17, vcc, v12, v17, vcc
	global_store_dword v[16:17], v13, off
	v_or_b32_e32 v12, 0x3200, v44
	v_mov_b32_e32 v13, v45
	v_lshlrev_b64 v[12:13], 2, v[12:13]
	v_mov_b32_e32 v16, s3
	v_add_co_u32_e32 v12, vcc, s2, v12
	v_addc_co_u32_e32 v13, vcc, v16, v13, vcc
	global_store_dword v[12:13], v14, off
	v_or_b32_e32 v12, 0x3300, v44
	v_mov_b32_e32 v13, v45
	v_lshlrev_b64 v[12:13], 2, v[12:13]
	v_mov_b32_e32 v14, s3
	v_add_co_u32_e32 v12, vcc, s2, v12
	v_addc_co_u32_e32 v13, vcc, v14, v13, vcc
	global_store_dword v[12:13], v15, off
	v_or_b32_e32 v12, 0x3400, v44
	v_mov_b32_e32 v13, v45
	v_lshlrev_b64 v[12:13], 2, v[12:13]
	v_add_co_u32_e32 v12, vcc, s2, v12
	v_addc_co_u32_e32 v13, vcc, v14, v13, vcc
	global_store_dword v[12:13], v8, off
	v_or_b32_e32 v12, 0x3500, v44
	v_mov_b32_e32 v13, v45
	v_lshlrev_b64 v[12:13], 2, v[12:13]
	v_mov_b32_e32 v8, s3
	v_add_co_u32_e32 v12, vcc, s2, v12
	v_addc_co_u32_e32 v13, vcc, v8, v13, vcc
	global_store_dword v[12:13], v9, off
	v_or_b32_e32 v8, 0x3600, v44
	v_mov_b32_e32 v9, v45
	v_lshlrev_b64 v[8:9], 2, v[8:9]
	v_mov_b32_e32 v12, s3
	v_add_co_u32_e32 v8, vcc, s2, v8
	v_addc_co_u32_e32 v9, vcc, v12, v9, vcc
	global_store_dword v[8:9], v10, off
	v_or_b32_e32 v8, 0x3700, v44
	v_mov_b32_e32 v9, v45
	v_lshlrev_b64 v[8:9], 2, v[8:9]
	v_mov_b32_e32 v10, s3
	v_add_co_u32_e32 v8, vcc, s2, v8
	v_addc_co_u32_e32 v9, vcc, v10, v9, vcc
	global_store_dword v[8:9], v11, off
	v_or_b32_e32 v8, 0x3800, v44
	v_mov_b32_e32 v9, v45
	v_lshlrev_b64 v[8:9], 2, v[8:9]
	v_add_co_u32_e32 v8, vcc, s2, v8
	v_addc_co_u32_e32 v9, vcc, v10, v9, vcc
	;; [unrolled: 27-line block ×3, first 2 shown]
	global_store_dword v[4:5], v0, off
	v_or_b32_e32 v4, 0x3d00, v44
	v_mov_b32_e32 v5, v45
	v_lshlrev_b64 v[4:5], 2, v[4:5]
	v_mov_b32_e32 v0, s3
	v_add_co_u32_e32 v4, vcc, s2, v4
	v_addc_co_u32_e32 v5, vcc, v0, v5, vcc
	global_store_dword v[4:5], v1, off
	v_or_b32_e32 v0, 0x3e00, v44
	v_mov_b32_e32 v1, v45
	v_lshlrev_b64 v[0:1], 2, v[0:1]
	v_mov_b32_e32 v4, s3
	v_add_co_u32_e32 v0, vcc, s2, v0
	v_addc_co_u32_e32 v1, vcc, v4, v1, vcc
	v_or_b32_e32 v44, 0x3f00, v44
	global_store_dword v[0:1], v2, off
	v_lshlrev_b64 v[0:1], 2, v[44:45]
	v_mov_b32_e32 v2, s3
	v_add_co_u32_e32 v0, vcc, s2, v0
	v_addc_co_u32_e32 v1, vcc, v2, v1, vcc
	global_store_dword v[0:1], v3, off
	s_endpgm
	.section	.rodata,"a",@progbits
	.p2align	6, 0x0
	.amdhsa_kernel _Z16warp_load_kernelILj256ELj64ELj32ELN6hipcub17WarpLoadAlgorithmE2EiEvPT3_S3_
		.amdhsa_group_segment_fixed_size 0
		.amdhsa_private_segment_fixed_size 0
		.amdhsa_kernarg_size 16
		.amdhsa_user_sgpr_count 6
		.amdhsa_user_sgpr_private_segment_buffer 1
		.amdhsa_user_sgpr_dispatch_ptr 0
		.amdhsa_user_sgpr_queue_ptr 0
		.amdhsa_user_sgpr_kernarg_segment_ptr 1
		.amdhsa_user_sgpr_dispatch_id 0
		.amdhsa_user_sgpr_flat_scratch_init 0
		.amdhsa_user_sgpr_kernarg_preload_length 0
		.amdhsa_user_sgpr_kernarg_preload_offset 0
		.amdhsa_user_sgpr_private_segment_size 0
		.amdhsa_uses_dynamic_stack 0
		.amdhsa_system_sgpr_private_segment_wavefront_offset 0
		.amdhsa_system_sgpr_workgroup_id_x 1
		.amdhsa_system_sgpr_workgroup_id_y 0
		.amdhsa_system_sgpr_workgroup_id_z 0
		.amdhsa_system_sgpr_workgroup_info 0
		.amdhsa_system_vgpr_workitem_id 0
		.amdhsa_next_free_vgpr 71
		.amdhsa_next_free_sgpr 7
		.amdhsa_accum_offset 72
		.amdhsa_reserve_vcc 1
		.amdhsa_reserve_flat_scratch 0
		.amdhsa_float_round_mode_32 0
		.amdhsa_float_round_mode_16_64 0
		.amdhsa_float_denorm_mode_32 3
		.amdhsa_float_denorm_mode_16_64 3
		.amdhsa_dx10_clamp 1
		.amdhsa_ieee_mode 1
		.amdhsa_fp16_overflow 0
		.amdhsa_tg_split 0
		.amdhsa_exception_fp_ieee_invalid_op 0
		.amdhsa_exception_fp_denorm_src 0
		.amdhsa_exception_fp_ieee_div_zero 0
		.amdhsa_exception_fp_ieee_overflow 0
		.amdhsa_exception_fp_ieee_underflow 0
		.amdhsa_exception_fp_ieee_inexact 0
		.amdhsa_exception_int_div_zero 0
	.end_amdhsa_kernel
	.section	.text._Z16warp_load_kernelILj256ELj64ELj32ELN6hipcub17WarpLoadAlgorithmE2EiEvPT3_S3_,"axG",@progbits,_Z16warp_load_kernelILj256ELj64ELj32ELN6hipcub17WarpLoadAlgorithmE2EiEvPT3_S3_,comdat
.Lfunc_end18:
	.size	_Z16warp_load_kernelILj256ELj64ELj32ELN6hipcub17WarpLoadAlgorithmE2EiEvPT3_S3_, .Lfunc_end18-_Z16warp_load_kernelILj256ELj64ELj32ELN6hipcub17WarpLoadAlgorithmE2EiEvPT3_S3_
                                        ; -- End function
	.section	.AMDGPU.csdata,"",@progbits
; Kernel info:
; codeLenInByte = 2660
; NumSgprs: 11
; NumVgprs: 71
; NumAgprs: 0
; TotalNumVgprs: 71
; ScratchSize: 0
; MemoryBound: 0
; FloatMode: 240
; IeeeMode: 1
; LDSByteSize: 0 bytes/workgroup (compile time only)
; SGPRBlocks: 1
; VGPRBlocks: 8
; NumSGPRsForWavesPerEU: 11
; NumVGPRsForWavesPerEU: 71
; AccumOffset: 72
; Occupancy: 7
; WaveLimiterHint : 1
; COMPUTE_PGM_RSRC2:SCRATCH_EN: 0
; COMPUTE_PGM_RSRC2:USER_SGPR: 6
; COMPUTE_PGM_RSRC2:TRAP_HANDLER: 0
; COMPUTE_PGM_RSRC2:TGID_X_EN: 1
; COMPUTE_PGM_RSRC2:TGID_Y_EN: 0
; COMPUTE_PGM_RSRC2:TGID_Z_EN: 0
; COMPUTE_PGM_RSRC2:TIDIG_COMP_CNT: 0
; COMPUTE_PGM_RSRC3_GFX90A:ACCUM_OFFSET: 17
; COMPUTE_PGM_RSRC3_GFX90A:TG_SPLIT: 0
	.section	.text._Z16warp_load_kernelILj256ELj4ELj32ELN6hipcub17WarpLoadAlgorithmE0EdEvPT3_S3_,"axG",@progbits,_Z16warp_load_kernelILj256ELj4ELj32ELN6hipcub17WarpLoadAlgorithmE0EdEvPT3_S3_,comdat
	.protected	_Z16warp_load_kernelILj256ELj4ELj32ELN6hipcub17WarpLoadAlgorithmE0EdEvPT3_S3_ ; -- Begin function _Z16warp_load_kernelILj256ELj4ELj32ELN6hipcub17WarpLoadAlgorithmE0EdEvPT3_S3_
	.globl	_Z16warp_load_kernelILj256ELj4ELj32ELN6hipcub17WarpLoadAlgorithmE0EdEvPT3_S3_
	.p2align	8
	.type	_Z16warp_load_kernelILj256ELj4ELj32ELN6hipcub17WarpLoadAlgorithmE0EdEvPT3_S3_,@function
_Z16warp_load_kernelILj256ELj4ELj32ELN6hipcub17WarpLoadAlgorithmE0EdEvPT3_S3_: ; @_Z16warp_load_kernelILj256ELj4ELj32ELN6hipcub17WarpLoadAlgorithmE0EdEvPT3_S3_
; %bb.0:
	s_load_dwordx4 s[0:3], s[4:5], 0x0
	v_lshlrev_b32_e32 v2, 2, v0
	s_lshl_b32 s4, s6, 10
	v_and_b32_e32 v2, 0x380, v2
	v_mbcnt_lo_u32_b32 v1, -1, 0
	v_or_b32_e32 v10, s4, v2
	v_mov_b32_e32 v11, 0
	v_mbcnt_hi_u32_b32 v1, -1, v1
	v_lshlrev_b64 v[2:3], 3, v[10:11]
	s_waitcnt lgkmcnt(0)
	v_mov_b32_e32 v4, s1
	v_add_co_u32_e32 v2, vcc, s0, v2
	v_lshlrev_b32_e32 v1, 5, v1
	v_addc_co_u32_e32 v3, vcc, v4, v3, vcc
	v_and_b32_e32 v1, 0x3e0, v1
	v_add_co_u32_e32 v12, vcc, v2, v1
	v_addc_co_u32_e32 v13, vcc, 0, v3, vcc
	global_load_dwordx4 v[2:5], v[12:13], off
	global_load_dwordx4 v[6:9], v[12:13], off offset:16
	v_or_b32_e32 v10, s4, v0
	v_lshlrev_b64 v[14:15], 3, v[10:11]
	v_mov_b32_e32 v1, v11
	v_or_b32_e32 v0, 0x100, v10
	v_mov_b32_e32 v16, s3
	v_add_co_u32_e32 v14, vcc, s2, v14
	v_lshlrev_b64 v[0:1], 3, v[0:1]
	v_addc_co_u32_e32 v15, vcc, v16, v15, vcc
	v_mov_b32_e32 v13, v11
	v_or_b32_e32 v12, 0x200, v10
	v_mov_b32_e32 v17, s3
	v_add_co_u32_e32 v0, vcc, s2, v0
	v_lshlrev_b64 v[12:13], 3, v[12:13]
	v_addc_co_u32_e32 v1, vcc, v17, v1, vcc
	v_or_b32_e32 v10, 0x300, v10
	v_mov_b32_e32 v18, s3
	v_add_co_u32_e32 v12, vcc, s2, v12
	v_lshlrev_b64 v[10:11], 3, v[10:11]
	v_addc_co_u32_e32 v13, vcc, v18, v13, vcc
	v_mov_b32_e32 v19, s3
	v_add_co_u32_e32 v10, vcc, s2, v10
	v_addc_co_u32_e32 v11, vcc, v19, v11, vcc
	s_waitcnt vmcnt(1)
	global_store_dwordx2 v[14:15], v[2:3], off
	global_store_dwordx2 v[0:1], v[4:5], off
	s_waitcnt vmcnt(2)
	global_store_dwordx2 v[12:13], v[6:7], off
	global_store_dwordx2 v[10:11], v[8:9], off
	s_endpgm
	.section	.rodata,"a",@progbits
	.p2align	6, 0x0
	.amdhsa_kernel _Z16warp_load_kernelILj256ELj4ELj32ELN6hipcub17WarpLoadAlgorithmE0EdEvPT3_S3_
		.amdhsa_group_segment_fixed_size 0
		.amdhsa_private_segment_fixed_size 0
		.amdhsa_kernarg_size 16
		.amdhsa_user_sgpr_count 6
		.amdhsa_user_sgpr_private_segment_buffer 1
		.amdhsa_user_sgpr_dispatch_ptr 0
		.amdhsa_user_sgpr_queue_ptr 0
		.amdhsa_user_sgpr_kernarg_segment_ptr 1
		.amdhsa_user_sgpr_dispatch_id 0
		.amdhsa_user_sgpr_flat_scratch_init 0
		.amdhsa_user_sgpr_kernarg_preload_length 0
		.amdhsa_user_sgpr_kernarg_preload_offset 0
		.amdhsa_user_sgpr_private_segment_size 0
		.amdhsa_uses_dynamic_stack 0
		.amdhsa_system_sgpr_private_segment_wavefront_offset 0
		.amdhsa_system_sgpr_workgroup_id_x 1
		.amdhsa_system_sgpr_workgroup_id_y 0
		.amdhsa_system_sgpr_workgroup_id_z 0
		.amdhsa_system_sgpr_workgroup_info 0
		.amdhsa_system_vgpr_workitem_id 0
		.amdhsa_next_free_vgpr 20
		.amdhsa_next_free_sgpr 7
		.amdhsa_accum_offset 20
		.amdhsa_reserve_vcc 1
		.amdhsa_reserve_flat_scratch 0
		.amdhsa_float_round_mode_32 0
		.amdhsa_float_round_mode_16_64 0
		.amdhsa_float_denorm_mode_32 3
		.amdhsa_float_denorm_mode_16_64 3
		.amdhsa_dx10_clamp 1
		.amdhsa_ieee_mode 1
		.amdhsa_fp16_overflow 0
		.amdhsa_tg_split 0
		.amdhsa_exception_fp_ieee_invalid_op 0
		.amdhsa_exception_fp_denorm_src 0
		.amdhsa_exception_fp_ieee_div_zero 0
		.amdhsa_exception_fp_ieee_overflow 0
		.amdhsa_exception_fp_ieee_underflow 0
		.amdhsa_exception_fp_ieee_inexact 0
		.amdhsa_exception_int_div_zero 0
	.end_amdhsa_kernel
	.section	.text._Z16warp_load_kernelILj256ELj4ELj32ELN6hipcub17WarpLoadAlgorithmE0EdEvPT3_S3_,"axG",@progbits,_Z16warp_load_kernelILj256ELj4ELj32ELN6hipcub17WarpLoadAlgorithmE0EdEvPT3_S3_,comdat
.Lfunc_end19:
	.size	_Z16warp_load_kernelILj256ELj4ELj32ELN6hipcub17WarpLoadAlgorithmE0EdEvPT3_S3_, .Lfunc_end19-_Z16warp_load_kernelILj256ELj4ELj32ELN6hipcub17WarpLoadAlgorithmE0EdEvPT3_S3_
                                        ; -- End function
	.section	.AMDGPU.csdata,"",@progbits
; Kernel info:
; codeLenInByte = 268
; NumSgprs: 11
; NumVgprs: 20
; NumAgprs: 0
; TotalNumVgprs: 20
; ScratchSize: 0
; MemoryBound: 0
; FloatMode: 240
; IeeeMode: 1
; LDSByteSize: 0 bytes/workgroup (compile time only)
; SGPRBlocks: 1
; VGPRBlocks: 2
; NumSGPRsForWavesPerEU: 11
; NumVGPRsForWavesPerEU: 20
; AccumOffset: 20
; Occupancy: 8
; WaveLimiterHint : 0
; COMPUTE_PGM_RSRC2:SCRATCH_EN: 0
; COMPUTE_PGM_RSRC2:USER_SGPR: 6
; COMPUTE_PGM_RSRC2:TRAP_HANDLER: 0
; COMPUTE_PGM_RSRC2:TGID_X_EN: 1
; COMPUTE_PGM_RSRC2:TGID_Y_EN: 0
; COMPUTE_PGM_RSRC2:TGID_Z_EN: 0
; COMPUTE_PGM_RSRC2:TIDIG_COMP_CNT: 0
; COMPUTE_PGM_RSRC3_GFX90A:ACCUM_OFFSET: 4
; COMPUTE_PGM_RSRC3_GFX90A:TG_SPLIT: 0
	.section	.text._Z16warp_load_kernelILj256ELj4ELj32ELN6hipcub17WarpLoadAlgorithmE1EdEvPT3_S3_,"axG",@progbits,_Z16warp_load_kernelILj256ELj4ELj32ELN6hipcub17WarpLoadAlgorithmE1EdEvPT3_S3_,comdat
	.protected	_Z16warp_load_kernelILj256ELj4ELj32ELN6hipcub17WarpLoadAlgorithmE1EdEvPT3_S3_ ; -- Begin function _Z16warp_load_kernelILj256ELj4ELj32ELN6hipcub17WarpLoadAlgorithmE1EdEvPT3_S3_
	.globl	_Z16warp_load_kernelILj256ELj4ELj32ELN6hipcub17WarpLoadAlgorithmE1EdEvPT3_S3_
	.p2align	8
	.type	_Z16warp_load_kernelILj256ELj4ELj32ELN6hipcub17WarpLoadAlgorithmE1EdEvPT3_S3_,@function
_Z16warp_load_kernelILj256ELj4ELj32ELN6hipcub17WarpLoadAlgorithmE1EdEvPT3_S3_: ; @_Z16warp_load_kernelILj256ELj4ELj32ELN6hipcub17WarpLoadAlgorithmE1EdEvPT3_S3_
; %bb.0:
	s_load_dwordx4 s[0:3], s[4:5], 0x0
	v_lshlrev_b32_e32 v2, 2, v0
	s_lshl_b32 s4, s6, 10
	v_and_b32_e32 v2, 0x380, v2
	v_mbcnt_lo_u32_b32 v1, -1, 0
	v_or_b32_e32 v2, s4, v2
	v_mov_b32_e32 v3, 0
	v_mbcnt_hi_u32_b32 v1, -1, v1
	v_lshlrev_b64 v[4:5], 3, v[2:3]
	v_and_b32_e32 v1, 31, v1
	s_waitcnt lgkmcnt(0)
	v_mov_b32_e32 v2, s1
	v_add_co_u32_e32 v4, vcc, s0, v4
	v_addc_co_u32_e32 v2, vcc, v2, v5, vcc
	v_lshlrev_b32_e32 v1, 3, v1
	v_add_co_u32_e32 v4, vcc, v4, v1
	v_addc_co_u32_e32 v5, vcc, 0, v2, vcc
	global_load_dwordx2 v[6:7], v[4:5], off
	global_load_dwordx2 v[8:9], v[4:5], off offset:256
	global_load_dwordx2 v[10:11], v[4:5], off offset:512
	;; [unrolled: 1-line block ×3, first 2 shown]
	v_or_b32_e32 v2, s4, v0
	v_lshlrev_b64 v[14:15], 3, v[2:3]
	v_mov_b32_e32 v1, v3
	v_or_b32_e32 v0, 0x100, v2
	v_mov_b32_e32 v16, s3
	v_add_co_u32_e32 v14, vcc, s2, v14
	v_lshlrev_b64 v[0:1], 3, v[0:1]
	v_addc_co_u32_e32 v15, vcc, v16, v15, vcc
	v_mov_b32_e32 v5, v3
	v_or_b32_e32 v4, 0x200, v2
	v_mov_b32_e32 v17, s3
	v_add_co_u32_e32 v0, vcc, s2, v0
	v_lshlrev_b64 v[4:5], 3, v[4:5]
	v_addc_co_u32_e32 v1, vcc, v17, v1, vcc
	v_or_b32_e32 v2, 0x300, v2
	v_mov_b32_e32 v18, s3
	v_add_co_u32_e32 v4, vcc, s2, v4
	v_lshlrev_b64 v[2:3], 3, v[2:3]
	v_addc_co_u32_e32 v5, vcc, v18, v5, vcc
	v_mov_b32_e32 v19, s3
	v_add_co_u32_e32 v2, vcc, s2, v2
	v_addc_co_u32_e32 v3, vcc, v19, v3, vcc
	s_waitcnt vmcnt(3)
	global_store_dwordx2 v[14:15], v[6:7], off
	s_waitcnt vmcnt(3)
	global_store_dwordx2 v[0:1], v[8:9], off
	;; [unrolled: 2-line block ×4, first 2 shown]
	s_endpgm
	.section	.rodata,"a",@progbits
	.p2align	6, 0x0
	.amdhsa_kernel _Z16warp_load_kernelILj256ELj4ELj32ELN6hipcub17WarpLoadAlgorithmE1EdEvPT3_S3_
		.amdhsa_group_segment_fixed_size 0
		.amdhsa_private_segment_fixed_size 0
		.amdhsa_kernarg_size 16
		.amdhsa_user_sgpr_count 6
		.amdhsa_user_sgpr_private_segment_buffer 1
		.amdhsa_user_sgpr_dispatch_ptr 0
		.amdhsa_user_sgpr_queue_ptr 0
		.amdhsa_user_sgpr_kernarg_segment_ptr 1
		.amdhsa_user_sgpr_dispatch_id 0
		.amdhsa_user_sgpr_flat_scratch_init 0
		.amdhsa_user_sgpr_kernarg_preload_length 0
		.amdhsa_user_sgpr_kernarg_preload_offset 0
		.amdhsa_user_sgpr_private_segment_size 0
		.amdhsa_uses_dynamic_stack 0
		.amdhsa_system_sgpr_private_segment_wavefront_offset 0
		.amdhsa_system_sgpr_workgroup_id_x 1
		.amdhsa_system_sgpr_workgroup_id_y 0
		.amdhsa_system_sgpr_workgroup_id_z 0
		.amdhsa_system_sgpr_workgroup_info 0
		.amdhsa_system_vgpr_workitem_id 0
		.amdhsa_next_free_vgpr 20
		.amdhsa_next_free_sgpr 7
		.amdhsa_accum_offset 20
		.amdhsa_reserve_vcc 1
		.amdhsa_reserve_flat_scratch 0
		.amdhsa_float_round_mode_32 0
		.amdhsa_float_round_mode_16_64 0
		.amdhsa_float_denorm_mode_32 3
		.amdhsa_float_denorm_mode_16_64 3
		.amdhsa_dx10_clamp 1
		.amdhsa_ieee_mode 1
		.amdhsa_fp16_overflow 0
		.amdhsa_tg_split 0
		.amdhsa_exception_fp_ieee_invalid_op 0
		.amdhsa_exception_fp_denorm_src 0
		.amdhsa_exception_fp_ieee_div_zero 0
		.amdhsa_exception_fp_ieee_overflow 0
		.amdhsa_exception_fp_ieee_underflow 0
		.amdhsa_exception_fp_ieee_inexact 0
		.amdhsa_exception_int_div_zero 0
	.end_amdhsa_kernel
	.section	.text._Z16warp_load_kernelILj256ELj4ELj32ELN6hipcub17WarpLoadAlgorithmE1EdEvPT3_S3_,"axG",@progbits,_Z16warp_load_kernelILj256ELj4ELj32ELN6hipcub17WarpLoadAlgorithmE1EdEvPT3_S3_,comdat
.Lfunc_end20:
	.size	_Z16warp_load_kernelILj256ELj4ELj32ELN6hipcub17WarpLoadAlgorithmE1EdEvPT3_S3_, .Lfunc_end20-_Z16warp_load_kernelILj256ELj4ELj32ELN6hipcub17WarpLoadAlgorithmE1EdEvPT3_S3_
                                        ; -- End function
	.section	.AMDGPU.csdata,"",@progbits
; Kernel info:
; codeLenInByte = 288
; NumSgprs: 11
; NumVgprs: 20
; NumAgprs: 0
; TotalNumVgprs: 20
; ScratchSize: 0
; MemoryBound: 0
; FloatMode: 240
; IeeeMode: 1
; LDSByteSize: 0 bytes/workgroup (compile time only)
; SGPRBlocks: 1
; VGPRBlocks: 2
; NumSGPRsForWavesPerEU: 11
; NumVGPRsForWavesPerEU: 20
; AccumOffset: 20
; Occupancy: 8
; WaveLimiterHint : 1
; COMPUTE_PGM_RSRC2:SCRATCH_EN: 0
; COMPUTE_PGM_RSRC2:USER_SGPR: 6
; COMPUTE_PGM_RSRC2:TRAP_HANDLER: 0
; COMPUTE_PGM_RSRC2:TGID_X_EN: 1
; COMPUTE_PGM_RSRC2:TGID_Y_EN: 0
; COMPUTE_PGM_RSRC2:TGID_Z_EN: 0
; COMPUTE_PGM_RSRC2:TIDIG_COMP_CNT: 0
; COMPUTE_PGM_RSRC3_GFX90A:ACCUM_OFFSET: 4
; COMPUTE_PGM_RSRC3_GFX90A:TG_SPLIT: 0
	.section	.text._Z16warp_load_kernelILj256ELj4ELj32ELN6hipcub17WarpLoadAlgorithmE2EdEvPT3_S3_,"axG",@progbits,_Z16warp_load_kernelILj256ELj4ELj32ELN6hipcub17WarpLoadAlgorithmE2EdEvPT3_S3_,comdat
	.protected	_Z16warp_load_kernelILj256ELj4ELj32ELN6hipcub17WarpLoadAlgorithmE2EdEvPT3_S3_ ; -- Begin function _Z16warp_load_kernelILj256ELj4ELj32ELN6hipcub17WarpLoadAlgorithmE2EdEvPT3_S3_
	.globl	_Z16warp_load_kernelILj256ELj4ELj32ELN6hipcub17WarpLoadAlgorithmE2EdEvPT3_S3_
	.p2align	8
	.type	_Z16warp_load_kernelILj256ELj4ELj32ELN6hipcub17WarpLoadAlgorithmE2EdEvPT3_S3_,@function
_Z16warp_load_kernelILj256ELj4ELj32ELN6hipcub17WarpLoadAlgorithmE2EdEvPT3_S3_: ; @_Z16warp_load_kernelILj256ELj4ELj32ELN6hipcub17WarpLoadAlgorithmE2EdEvPT3_S3_
; %bb.0:
	s_load_dwordx4 s[0:3], s[4:5], 0x0
	v_lshlrev_b32_e32 v2, 2, v0
	s_lshl_b32 s4, s6, 10
	v_and_b32_e32 v2, 0x380, v2
	v_mbcnt_lo_u32_b32 v1, -1, 0
	v_or_b32_e32 v10, s4, v2
	v_mov_b32_e32 v11, 0
	v_mbcnt_hi_u32_b32 v1, -1, v1
	v_lshlrev_b64 v[2:3], 3, v[10:11]
	s_waitcnt lgkmcnt(0)
	v_mov_b32_e32 v4, s1
	v_add_co_u32_e32 v2, vcc, s0, v2
	v_lshlrev_b32_e32 v1, 5, v1
	v_addc_co_u32_e32 v3, vcc, v4, v3, vcc
	v_and_b32_e32 v1, 0x3e0, v1
	v_add_co_u32_e32 v12, vcc, v2, v1
	v_addc_co_u32_e32 v13, vcc, 0, v3, vcc
	global_load_dwordx4 v[2:5], v[12:13], off
	global_load_dwordx4 v[6:9], v[12:13], off offset:16
	v_or_b32_e32 v10, s4, v0
	v_lshlrev_b64 v[14:15], 3, v[10:11]
	v_mov_b32_e32 v1, v11
	v_or_b32_e32 v0, 0x100, v10
	v_mov_b32_e32 v16, s3
	v_add_co_u32_e32 v14, vcc, s2, v14
	v_lshlrev_b64 v[0:1], 3, v[0:1]
	v_addc_co_u32_e32 v15, vcc, v16, v15, vcc
	v_mov_b32_e32 v13, v11
	v_or_b32_e32 v12, 0x200, v10
	v_mov_b32_e32 v17, s3
	v_add_co_u32_e32 v0, vcc, s2, v0
	v_lshlrev_b64 v[12:13], 3, v[12:13]
	v_addc_co_u32_e32 v1, vcc, v17, v1, vcc
	v_or_b32_e32 v10, 0x300, v10
	v_mov_b32_e32 v18, s3
	v_add_co_u32_e32 v12, vcc, s2, v12
	v_lshlrev_b64 v[10:11], 3, v[10:11]
	v_addc_co_u32_e32 v13, vcc, v18, v13, vcc
	v_mov_b32_e32 v19, s3
	v_add_co_u32_e32 v10, vcc, s2, v10
	v_addc_co_u32_e32 v11, vcc, v19, v11, vcc
	s_waitcnt vmcnt(1)
	global_store_dwordx2 v[14:15], v[2:3], off
	global_store_dwordx2 v[0:1], v[4:5], off
	s_waitcnt vmcnt(2)
	global_store_dwordx2 v[12:13], v[6:7], off
	global_store_dwordx2 v[10:11], v[8:9], off
	s_endpgm
	.section	.rodata,"a",@progbits
	.p2align	6, 0x0
	.amdhsa_kernel _Z16warp_load_kernelILj256ELj4ELj32ELN6hipcub17WarpLoadAlgorithmE2EdEvPT3_S3_
		.amdhsa_group_segment_fixed_size 0
		.amdhsa_private_segment_fixed_size 0
		.amdhsa_kernarg_size 16
		.amdhsa_user_sgpr_count 6
		.amdhsa_user_sgpr_private_segment_buffer 1
		.amdhsa_user_sgpr_dispatch_ptr 0
		.amdhsa_user_sgpr_queue_ptr 0
		.amdhsa_user_sgpr_kernarg_segment_ptr 1
		.amdhsa_user_sgpr_dispatch_id 0
		.amdhsa_user_sgpr_flat_scratch_init 0
		.amdhsa_user_sgpr_kernarg_preload_length 0
		.amdhsa_user_sgpr_kernarg_preload_offset 0
		.amdhsa_user_sgpr_private_segment_size 0
		.amdhsa_uses_dynamic_stack 0
		.amdhsa_system_sgpr_private_segment_wavefront_offset 0
		.amdhsa_system_sgpr_workgroup_id_x 1
		.amdhsa_system_sgpr_workgroup_id_y 0
		.amdhsa_system_sgpr_workgroup_id_z 0
		.amdhsa_system_sgpr_workgroup_info 0
		.amdhsa_system_vgpr_workitem_id 0
		.amdhsa_next_free_vgpr 20
		.amdhsa_next_free_sgpr 7
		.amdhsa_accum_offset 20
		.amdhsa_reserve_vcc 1
		.amdhsa_reserve_flat_scratch 0
		.amdhsa_float_round_mode_32 0
		.amdhsa_float_round_mode_16_64 0
		.amdhsa_float_denorm_mode_32 3
		.amdhsa_float_denorm_mode_16_64 3
		.amdhsa_dx10_clamp 1
		.amdhsa_ieee_mode 1
		.amdhsa_fp16_overflow 0
		.amdhsa_tg_split 0
		.amdhsa_exception_fp_ieee_invalid_op 0
		.amdhsa_exception_fp_denorm_src 0
		.amdhsa_exception_fp_ieee_div_zero 0
		.amdhsa_exception_fp_ieee_overflow 0
		.amdhsa_exception_fp_ieee_underflow 0
		.amdhsa_exception_fp_ieee_inexact 0
		.amdhsa_exception_int_div_zero 0
	.end_amdhsa_kernel
	.section	.text._Z16warp_load_kernelILj256ELj4ELj32ELN6hipcub17WarpLoadAlgorithmE2EdEvPT3_S3_,"axG",@progbits,_Z16warp_load_kernelILj256ELj4ELj32ELN6hipcub17WarpLoadAlgorithmE2EdEvPT3_S3_,comdat
.Lfunc_end21:
	.size	_Z16warp_load_kernelILj256ELj4ELj32ELN6hipcub17WarpLoadAlgorithmE2EdEvPT3_S3_, .Lfunc_end21-_Z16warp_load_kernelILj256ELj4ELj32ELN6hipcub17WarpLoadAlgorithmE2EdEvPT3_S3_
                                        ; -- End function
	.section	.AMDGPU.csdata,"",@progbits
; Kernel info:
; codeLenInByte = 268
; NumSgprs: 11
; NumVgprs: 20
; NumAgprs: 0
; TotalNumVgprs: 20
; ScratchSize: 0
; MemoryBound: 0
; FloatMode: 240
; IeeeMode: 1
; LDSByteSize: 0 bytes/workgroup (compile time only)
; SGPRBlocks: 1
; VGPRBlocks: 2
; NumSGPRsForWavesPerEU: 11
; NumVGPRsForWavesPerEU: 20
; AccumOffset: 20
; Occupancy: 8
; WaveLimiterHint : 0
; COMPUTE_PGM_RSRC2:SCRATCH_EN: 0
; COMPUTE_PGM_RSRC2:USER_SGPR: 6
; COMPUTE_PGM_RSRC2:TRAP_HANDLER: 0
; COMPUTE_PGM_RSRC2:TGID_X_EN: 1
; COMPUTE_PGM_RSRC2:TGID_Y_EN: 0
; COMPUTE_PGM_RSRC2:TGID_Z_EN: 0
; COMPUTE_PGM_RSRC2:TIDIG_COMP_CNT: 0
; COMPUTE_PGM_RSRC3_GFX90A:ACCUM_OFFSET: 4
; COMPUTE_PGM_RSRC3_GFX90A:TG_SPLIT: 0
	.section	.text._Z16warp_load_kernelILj256ELj4ELj32ELN6hipcub17WarpLoadAlgorithmE3EdEvPT3_S3_,"axG",@progbits,_Z16warp_load_kernelILj256ELj4ELj32ELN6hipcub17WarpLoadAlgorithmE3EdEvPT3_S3_,comdat
	.protected	_Z16warp_load_kernelILj256ELj4ELj32ELN6hipcub17WarpLoadAlgorithmE3EdEvPT3_S3_ ; -- Begin function _Z16warp_load_kernelILj256ELj4ELj32ELN6hipcub17WarpLoadAlgorithmE3EdEvPT3_S3_
	.globl	_Z16warp_load_kernelILj256ELj4ELj32ELN6hipcub17WarpLoadAlgorithmE3EdEvPT3_S3_
	.p2align	8
	.type	_Z16warp_load_kernelILj256ELj4ELj32ELN6hipcub17WarpLoadAlgorithmE3EdEvPT3_S3_,@function
_Z16warp_load_kernelILj256ELj4ELj32ELN6hipcub17WarpLoadAlgorithmE3EdEvPT3_S3_: ; @_Z16warp_load_kernelILj256ELj4ELj32ELN6hipcub17WarpLoadAlgorithmE3EdEvPT3_S3_
; %bb.0:
	s_load_dwordx4 s[0:3], s[4:5], 0x0
	v_lshrrev_b32_e32 v14, 5, v0
	s_lshl_b32 s4, s6, 10
	v_mbcnt_lo_u32_b32 v1, -1, 0
	v_lshl_or_b32 v2, v14, 7, s4
	v_mov_b32_e32 v3, 0
	v_mbcnt_hi_u32_b32 v1, -1, v1
	v_lshlrev_b64 v[4:5], 3, v[2:3]
	v_and_b32_e32 v16, 31, v1
	s_waitcnt lgkmcnt(0)
	v_mov_b32_e32 v1, s1
	v_add_co_u32_e32 v2, vcc, s0, v4
	v_addc_co_u32_e32 v1, vcc, v1, v5, vcc
	v_lshlrev_b32_e32 v15, 3, v16
	v_add_co_u32_e32 v4, vcc, v2, v15
	v_addc_co_u32_e32 v5, vcc, 0, v1, vcc
	global_load_dwordx2 v[6:7], v[4:5], off
	global_load_dwordx2 v[8:9], v[4:5], off offset:256
	global_load_dwordx2 v[10:11], v[4:5], off offset:512
	;; [unrolled: 1-line block ×3, first 2 shown]
	v_or_b32_e32 v2, s4, v0
	v_lshl_or_b32 v22, v14, 10, v15
	v_lshlrev_b64 v[14:15], 3, v[2:3]
	v_or_b32_e32 v0, 0x100, v2
	v_or_b32_e32 v4, 0x200, v2
	;; [unrolled: 1-line block ×3, first 2 shown]
	v_mov_b32_e32 v1, v3
	v_mad_u32_u24 v23, v16, 24, v22
	v_lshlrev_b64 v[16:17], 3, v[2:3]
	v_mov_b32_e32 v2, s3
	v_add_co_u32_e32 v14, vcc, s2, v14
	v_lshlrev_b64 v[0:1], 3, v[0:1]
	v_addc_co_u32_e32 v15, vcc, v2, v15, vcc
	v_mov_b32_e32 v5, v3
	v_mov_b32_e32 v3, s3
	v_add_co_u32_e32 v18, vcc, s2, v0
	v_lshlrev_b64 v[4:5], 3, v[4:5]
	v_addc_co_u32_e32 v19, vcc, v3, v1, vcc
	v_mov_b32_e32 v21, s3
	v_add_co_u32_e32 v20, vcc, s2, v4
	v_addc_co_u32_e32 v21, vcc, v21, v5, vcc
	v_mov_b32_e32 v24, s3
	s_waitcnt vmcnt(2)
	ds_write2_b64 v22, v[6:7], v[8:9] offset1:32
	s_waitcnt vmcnt(0)
	ds_write2_b64 v22, v[10:11], v[12:13] offset0:64 offset1:96
	; wave barrier
	ds_read_b128 v[0:3], v23
	ds_read_b128 v[4:7], v23 offset:16
	v_add_co_u32_e32 v8, vcc, s2, v16
	v_addc_co_u32_e32 v9, vcc, v24, v17, vcc
	s_waitcnt lgkmcnt(1)
	global_store_dwordx2 v[14:15], v[0:1], off
	global_store_dwordx2 v[18:19], v[2:3], off
	s_waitcnt lgkmcnt(0)
	global_store_dwordx2 v[20:21], v[4:5], off
	global_store_dwordx2 v[8:9], v[6:7], off
	s_endpgm
	.section	.rodata,"a",@progbits
	.p2align	6, 0x0
	.amdhsa_kernel _Z16warp_load_kernelILj256ELj4ELj32ELN6hipcub17WarpLoadAlgorithmE3EdEvPT3_S3_
		.amdhsa_group_segment_fixed_size 8192
		.amdhsa_private_segment_fixed_size 0
		.amdhsa_kernarg_size 16
		.amdhsa_user_sgpr_count 6
		.amdhsa_user_sgpr_private_segment_buffer 1
		.amdhsa_user_sgpr_dispatch_ptr 0
		.amdhsa_user_sgpr_queue_ptr 0
		.amdhsa_user_sgpr_kernarg_segment_ptr 1
		.amdhsa_user_sgpr_dispatch_id 0
		.amdhsa_user_sgpr_flat_scratch_init 0
		.amdhsa_user_sgpr_kernarg_preload_length 0
		.amdhsa_user_sgpr_kernarg_preload_offset 0
		.amdhsa_user_sgpr_private_segment_size 0
		.amdhsa_uses_dynamic_stack 0
		.amdhsa_system_sgpr_private_segment_wavefront_offset 0
		.amdhsa_system_sgpr_workgroup_id_x 1
		.amdhsa_system_sgpr_workgroup_id_y 0
		.amdhsa_system_sgpr_workgroup_id_z 0
		.amdhsa_system_sgpr_workgroup_info 0
		.amdhsa_system_vgpr_workitem_id 0
		.amdhsa_next_free_vgpr 25
		.amdhsa_next_free_sgpr 7
		.amdhsa_accum_offset 28
		.amdhsa_reserve_vcc 1
		.amdhsa_reserve_flat_scratch 0
		.amdhsa_float_round_mode_32 0
		.amdhsa_float_round_mode_16_64 0
		.amdhsa_float_denorm_mode_32 3
		.amdhsa_float_denorm_mode_16_64 3
		.amdhsa_dx10_clamp 1
		.amdhsa_ieee_mode 1
		.amdhsa_fp16_overflow 0
		.amdhsa_tg_split 0
		.amdhsa_exception_fp_ieee_invalid_op 0
		.amdhsa_exception_fp_denorm_src 0
		.amdhsa_exception_fp_ieee_div_zero 0
		.amdhsa_exception_fp_ieee_overflow 0
		.amdhsa_exception_fp_ieee_underflow 0
		.amdhsa_exception_fp_ieee_inexact 0
		.amdhsa_exception_int_div_zero 0
	.end_amdhsa_kernel
	.section	.text._Z16warp_load_kernelILj256ELj4ELj32ELN6hipcub17WarpLoadAlgorithmE3EdEvPT3_S3_,"axG",@progbits,_Z16warp_load_kernelILj256ELj4ELj32ELN6hipcub17WarpLoadAlgorithmE3EdEvPT3_S3_,comdat
.Lfunc_end22:
	.size	_Z16warp_load_kernelILj256ELj4ELj32ELN6hipcub17WarpLoadAlgorithmE3EdEvPT3_S3_, .Lfunc_end22-_Z16warp_load_kernelILj256ELj4ELj32ELN6hipcub17WarpLoadAlgorithmE3EdEvPT3_S3_
                                        ; -- End function
	.section	.AMDGPU.csdata,"",@progbits
; Kernel info:
; codeLenInByte = 332
; NumSgprs: 11
; NumVgprs: 25
; NumAgprs: 0
; TotalNumVgprs: 25
; ScratchSize: 0
; MemoryBound: 1
; FloatMode: 240
; IeeeMode: 1
; LDSByteSize: 8192 bytes/workgroup (compile time only)
; SGPRBlocks: 1
; VGPRBlocks: 3
; NumSGPRsForWavesPerEU: 11
; NumVGPRsForWavesPerEU: 25
; AccumOffset: 28
; Occupancy: 8
; WaveLimiterHint : 1
; COMPUTE_PGM_RSRC2:SCRATCH_EN: 0
; COMPUTE_PGM_RSRC2:USER_SGPR: 6
; COMPUTE_PGM_RSRC2:TRAP_HANDLER: 0
; COMPUTE_PGM_RSRC2:TGID_X_EN: 1
; COMPUTE_PGM_RSRC2:TGID_Y_EN: 0
; COMPUTE_PGM_RSRC2:TGID_Z_EN: 0
; COMPUTE_PGM_RSRC2:TIDIG_COMP_CNT: 0
; COMPUTE_PGM_RSRC3_GFX90A:ACCUM_OFFSET: 6
; COMPUTE_PGM_RSRC3_GFX90A:TG_SPLIT: 0
	.section	.text._Z16warp_load_kernelILj256ELj8ELj32ELN6hipcub17WarpLoadAlgorithmE0EdEvPT3_S3_,"axG",@progbits,_Z16warp_load_kernelILj256ELj8ELj32ELN6hipcub17WarpLoadAlgorithmE0EdEvPT3_S3_,comdat
	.protected	_Z16warp_load_kernelILj256ELj8ELj32ELN6hipcub17WarpLoadAlgorithmE0EdEvPT3_S3_ ; -- Begin function _Z16warp_load_kernelILj256ELj8ELj32ELN6hipcub17WarpLoadAlgorithmE0EdEvPT3_S3_
	.globl	_Z16warp_load_kernelILj256ELj8ELj32ELN6hipcub17WarpLoadAlgorithmE0EdEvPT3_S3_
	.p2align	8
	.type	_Z16warp_load_kernelILj256ELj8ELj32ELN6hipcub17WarpLoadAlgorithmE0EdEvPT3_S3_,@function
_Z16warp_load_kernelILj256ELj8ELj32ELN6hipcub17WarpLoadAlgorithmE0EdEvPT3_S3_: ; @_Z16warp_load_kernelILj256ELj8ELj32ELN6hipcub17WarpLoadAlgorithmE0EdEvPT3_S3_
; %bb.0:
	s_load_dwordx4 s[0:3], s[4:5], 0x0
	v_lshlrev_b32_e32 v2, 3, v0
	s_lshl_b32 s4, s6, 11
	v_and_b32_e32 v2, 0x700, v2
	v_mbcnt_lo_u32_b32 v1, -1, 0
	v_or_b32_e32 v18, s4, v2
	v_mov_b32_e32 v19, 0
	v_mbcnt_hi_u32_b32 v1, -1, v1
	v_lshlrev_b64 v[2:3], 3, v[18:19]
	s_waitcnt lgkmcnt(0)
	v_mov_b32_e32 v4, s1
	v_add_co_u32_e32 v2, vcc, s0, v2
	v_lshlrev_b32_e32 v1, 6, v1
	v_addc_co_u32_e32 v3, vcc, v4, v3, vcc
	v_and_b32_e32 v1, 0x7c0, v1
	v_add_co_u32_e32 v20, vcc, v2, v1
	v_addc_co_u32_e32 v21, vcc, 0, v3, vcc
	global_load_dwordx4 v[2:5], v[20:21], off
	global_load_dwordx4 v[6:9], v[20:21], off offset:16
	global_load_dwordx4 v[10:13], v[20:21], off offset:32
	;; [unrolled: 1-line block ×3, first 2 shown]
	v_or_b32_e32 v18, s4, v0
	v_lshlrev_b64 v[28:29], 3, v[18:19]
	v_mov_b32_e32 v1, v19
	v_or_b32_e32 v0, 0x200, v18
	v_mov_b32_e32 v30, s3
	v_add_co_u32_e32 v28, vcc, s2, v28
	v_lshlrev_b64 v[0:1], 3, v[0:1]
	v_addc_co_u32_e32 v29, vcc, v30, v29, vcc
	v_mov_b32_e32 v21, v19
	v_or_b32_e32 v20, 0x300, v18
	v_mov_b32_e32 v31, s3
	v_add_co_u32_e32 v0, vcc, s2, v0
	v_lshlrev_b64 v[20:21], 3, v[20:21]
	v_addc_co_u32_e32 v1, vcc, v31, v1, vcc
	;; [unrolled: 6-line block ×5, first 2 shown]
	v_or_b32_e32 v18, 0x700, v18
	v_mov_b32_e32 v35, s3
	v_add_co_u32_e32 v26, vcc, s2, v26
	v_lshlrev_b64 v[18:19], 3, v[18:19]
	v_addc_co_u32_e32 v27, vcc, v35, v27, vcc
	v_mov_b32_e32 v36, s3
	v_add_co_u32_e32 v18, vcc, s2, v18
	v_addc_co_u32_e32 v19, vcc, v36, v19, vcc
	s_waitcnt vmcnt(3)
	global_store_dwordx2 v[28:29], v[2:3], off
	global_store_dwordx2 v[28:29], v[4:5], off offset:2048
	s_waitcnt vmcnt(4)
	global_store_dwordx2 v[0:1], v[6:7], off
	global_store_dwordx2 v[20:21], v[8:9], off
	s_waitcnt vmcnt(5)
	global_store_dwordx2 v[22:23], v[10:11], off
	global_store_dwordx2 v[24:25], v[12:13], off
	;; [unrolled: 3-line block ×3, first 2 shown]
	s_endpgm
	.section	.rodata,"a",@progbits
	.p2align	6, 0x0
	.amdhsa_kernel _Z16warp_load_kernelILj256ELj8ELj32ELN6hipcub17WarpLoadAlgorithmE0EdEvPT3_S3_
		.amdhsa_group_segment_fixed_size 0
		.amdhsa_private_segment_fixed_size 0
		.amdhsa_kernarg_size 16
		.amdhsa_user_sgpr_count 6
		.amdhsa_user_sgpr_private_segment_buffer 1
		.amdhsa_user_sgpr_dispatch_ptr 0
		.amdhsa_user_sgpr_queue_ptr 0
		.amdhsa_user_sgpr_kernarg_segment_ptr 1
		.amdhsa_user_sgpr_dispatch_id 0
		.amdhsa_user_sgpr_flat_scratch_init 0
		.amdhsa_user_sgpr_kernarg_preload_length 0
		.amdhsa_user_sgpr_kernarg_preload_offset 0
		.amdhsa_user_sgpr_private_segment_size 0
		.amdhsa_uses_dynamic_stack 0
		.amdhsa_system_sgpr_private_segment_wavefront_offset 0
		.amdhsa_system_sgpr_workgroup_id_x 1
		.amdhsa_system_sgpr_workgroup_id_y 0
		.amdhsa_system_sgpr_workgroup_id_z 0
		.amdhsa_system_sgpr_workgroup_info 0
		.amdhsa_system_vgpr_workitem_id 0
		.amdhsa_next_free_vgpr 37
		.amdhsa_next_free_sgpr 7
		.amdhsa_accum_offset 40
		.amdhsa_reserve_vcc 1
		.amdhsa_reserve_flat_scratch 0
		.amdhsa_float_round_mode_32 0
		.amdhsa_float_round_mode_16_64 0
		.amdhsa_float_denorm_mode_32 3
		.amdhsa_float_denorm_mode_16_64 3
		.amdhsa_dx10_clamp 1
		.amdhsa_ieee_mode 1
		.amdhsa_fp16_overflow 0
		.amdhsa_tg_split 0
		.amdhsa_exception_fp_ieee_invalid_op 0
		.amdhsa_exception_fp_denorm_src 0
		.amdhsa_exception_fp_ieee_div_zero 0
		.amdhsa_exception_fp_ieee_overflow 0
		.amdhsa_exception_fp_ieee_underflow 0
		.amdhsa_exception_fp_ieee_inexact 0
		.amdhsa_exception_int_div_zero 0
	.end_amdhsa_kernel
	.section	.text._Z16warp_load_kernelILj256ELj8ELj32ELN6hipcub17WarpLoadAlgorithmE0EdEvPT3_S3_,"axG",@progbits,_Z16warp_load_kernelILj256ELj8ELj32ELN6hipcub17WarpLoadAlgorithmE0EdEvPT3_S3_,comdat
.Lfunc_end23:
	.size	_Z16warp_load_kernelILj256ELj8ELj32ELN6hipcub17WarpLoadAlgorithmE0EdEvPT3_S3_, .Lfunc_end23-_Z16warp_load_kernelILj256ELj8ELj32ELN6hipcub17WarpLoadAlgorithmE0EdEvPT3_S3_
                                        ; -- End function
	.section	.AMDGPU.csdata,"",@progbits
; Kernel info:
; codeLenInByte = 420
; NumSgprs: 11
; NumVgprs: 37
; NumAgprs: 0
; TotalNumVgprs: 37
; ScratchSize: 0
; MemoryBound: 0
; FloatMode: 240
; IeeeMode: 1
; LDSByteSize: 0 bytes/workgroup (compile time only)
; SGPRBlocks: 1
; VGPRBlocks: 4
; NumSGPRsForWavesPerEU: 11
; NumVGPRsForWavesPerEU: 37
; AccumOffset: 40
; Occupancy: 8
; WaveLimiterHint : 1
; COMPUTE_PGM_RSRC2:SCRATCH_EN: 0
; COMPUTE_PGM_RSRC2:USER_SGPR: 6
; COMPUTE_PGM_RSRC2:TRAP_HANDLER: 0
; COMPUTE_PGM_RSRC2:TGID_X_EN: 1
; COMPUTE_PGM_RSRC2:TGID_Y_EN: 0
; COMPUTE_PGM_RSRC2:TGID_Z_EN: 0
; COMPUTE_PGM_RSRC2:TIDIG_COMP_CNT: 0
; COMPUTE_PGM_RSRC3_GFX90A:ACCUM_OFFSET: 9
; COMPUTE_PGM_RSRC3_GFX90A:TG_SPLIT: 0
	.section	.text._Z16warp_load_kernelILj256ELj8ELj32ELN6hipcub17WarpLoadAlgorithmE1EdEvPT3_S3_,"axG",@progbits,_Z16warp_load_kernelILj256ELj8ELj32ELN6hipcub17WarpLoadAlgorithmE1EdEvPT3_S3_,comdat
	.protected	_Z16warp_load_kernelILj256ELj8ELj32ELN6hipcub17WarpLoadAlgorithmE1EdEvPT3_S3_ ; -- Begin function _Z16warp_load_kernelILj256ELj8ELj32ELN6hipcub17WarpLoadAlgorithmE1EdEvPT3_S3_
	.globl	_Z16warp_load_kernelILj256ELj8ELj32ELN6hipcub17WarpLoadAlgorithmE1EdEvPT3_S3_
	.p2align	8
	.type	_Z16warp_load_kernelILj256ELj8ELj32ELN6hipcub17WarpLoadAlgorithmE1EdEvPT3_S3_,@function
_Z16warp_load_kernelILj256ELj8ELj32ELN6hipcub17WarpLoadAlgorithmE1EdEvPT3_S3_: ; @_Z16warp_load_kernelILj256ELj8ELj32ELN6hipcub17WarpLoadAlgorithmE1EdEvPT3_S3_
; %bb.0:
	s_load_dwordx4 s[0:3], s[4:5], 0x0
	v_lshlrev_b32_e32 v2, 3, v0
	s_lshl_b32 s4, s6, 11
	v_and_b32_e32 v2, 0x700, v2
	v_mbcnt_lo_u32_b32 v1, -1, 0
	v_or_b32_e32 v2, s4, v2
	v_mov_b32_e32 v3, 0
	v_mbcnt_hi_u32_b32 v1, -1, v1
	v_lshlrev_b64 v[4:5], 3, v[2:3]
	v_and_b32_e32 v1, 31, v1
	s_waitcnt lgkmcnt(0)
	v_mov_b32_e32 v2, s1
	v_add_co_u32_e32 v4, vcc, s0, v4
	v_addc_co_u32_e32 v2, vcc, v2, v5, vcc
	v_lshlrev_b32_e32 v1, 3, v1
	v_add_co_u32_e32 v4, vcc, v4, v1
	v_addc_co_u32_e32 v5, vcc, 0, v2, vcc
	global_load_dwordx2 v[6:7], v[4:5], off
	global_load_dwordx2 v[8:9], v[4:5], off offset:256
	global_load_dwordx2 v[10:11], v[4:5], off offset:512
	;; [unrolled: 1-line block ×7, first 2 shown]
	v_or_b32_e32 v2, s4, v0
	v_lshlrev_b64 v[28:29], 3, v[2:3]
	v_mov_b32_e32 v1, v3
	v_or_b32_e32 v0, 0x200, v2
	v_mov_b32_e32 v30, s3
	v_add_co_u32_e32 v28, vcc, s2, v28
	v_lshlrev_b64 v[0:1], 3, v[0:1]
	v_addc_co_u32_e32 v29, vcc, v30, v29, vcc
	v_mov_b32_e32 v5, v3
	v_or_b32_e32 v4, 0x300, v2
	v_mov_b32_e32 v31, s3
	v_add_co_u32_e32 v0, vcc, s2, v0
	v_lshlrev_b64 v[4:5], 3, v[4:5]
	v_addc_co_u32_e32 v1, vcc, v31, v1, vcc
	;; [unrolled: 6-line block ×5, first 2 shown]
	v_or_b32_e32 v2, 0x700, v2
	v_mov_b32_e32 v35, s3
	v_add_co_u32_e32 v26, vcc, s2, v26
	v_lshlrev_b64 v[2:3], 3, v[2:3]
	v_addc_co_u32_e32 v27, vcc, v35, v27, vcc
	v_mov_b32_e32 v36, s3
	s_waitcnt vmcnt(7)
	global_store_dwordx2 v[28:29], v[6:7], off
	s_waitcnt vmcnt(7)
	global_store_dwordx2 v[28:29], v[8:9], off offset:2048
	s_waitcnt vmcnt(7)
	global_store_dwordx2 v[0:1], v[10:11], off
	s_waitcnt vmcnt(7)
	global_store_dwordx2 v[4:5], v[12:13], off
	;; [unrolled: 2-line block ×5, first 2 shown]
	v_add_co_u32_e32 v0, vcc, s2, v2
	v_addc_co_u32_e32 v1, vcc, v36, v3, vcc
	s_waitcnt vmcnt(7)
	global_store_dwordx2 v[0:1], v[20:21], off
	s_endpgm
	.section	.rodata,"a",@progbits
	.p2align	6, 0x0
	.amdhsa_kernel _Z16warp_load_kernelILj256ELj8ELj32ELN6hipcub17WarpLoadAlgorithmE1EdEvPT3_S3_
		.amdhsa_group_segment_fixed_size 0
		.amdhsa_private_segment_fixed_size 0
		.amdhsa_kernarg_size 16
		.amdhsa_user_sgpr_count 6
		.amdhsa_user_sgpr_private_segment_buffer 1
		.amdhsa_user_sgpr_dispatch_ptr 0
		.amdhsa_user_sgpr_queue_ptr 0
		.amdhsa_user_sgpr_kernarg_segment_ptr 1
		.amdhsa_user_sgpr_dispatch_id 0
		.amdhsa_user_sgpr_flat_scratch_init 0
		.amdhsa_user_sgpr_kernarg_preload_length 0
		.amdhsa_user_sgpr_kernarg_preload_offset 0
		.amdhsa_user_sgpr_private_segment_size 0
		.amdhsa_uses_dynamic_stack 0
		.amdhsa_system_sgpr_private_segment_wavefront_offset 0
		.amdhsa_system_sgpr_workgroup_id_x 1
		.amdhsa_system_sgpr_workgroup_id_y 0
		.amdhsa_system_sgpr_workgroup_id_z 0
		.amdhsa_system_sgpr_workgroup_info 0
		.amdhsa_system_vgpr_workitem_id 0
		.amdhsa_next_free_vgpr 37
		.amdhsa_next_free_sgpr 7
		.amdhsa_accum_offset 40
		.amdhsa_reserve_vcc 1
		.amdhsa_reserve_flat_scratch 0
		.amdhsa_float_round_mode_32 0
		.amdhsa_float_round_mode_16_64 0
		.amdhsa_float_denorm_mode_32 3
		.amdhsa_float_denorm_mode_16_64 3
		.amdhsa_dx10_clamp 1
		.amdhsa_ieee_mode 1
		.amdhsa_fp16_overflow 0
		.amdhsa_tg_split 0
		.amdhsa_exception_fp_ieee_invalid_op 0
		.amdhsa_exception_fp_denorm_src 0
		.amdhsa_exception_fp_ieee_div_zero 0
		.amdhsa_exception_fp_ieee_overflow 0
		.amdhsa_exception_fp_ieee_underflow 0
		.amdhsa_exception_fp_ieee_inexact 0
		.amdhsa_exception_int_div_zero 0
	.end_amdhsa_kernel
	.section	.text._Z16warp_load_kernelILj256ELj8ELj32ELN6hipcub17WarpLoadAlgorithmE1EdEvPT3_S3_,"axG",@progbits,_Z16warp_load_kernelILj256ELj8ELj32ELN6hipcub17WarpLoadAlgorithmE1EdEvPT3_S3_,comdat
.Lfunc_end24:
	.size	_Z16warp_load_kernelILj256ELj8ELj32ELN6hipcub17WarpLoadAlgorithmE1EdEvPT3_S3_, .Lfunc_end24-_Z16warp_load_kernelILj256ELj8ELj32ELN6hipcub17WarpLoadAlgorithmE1EdEvPT3_S3_
                                        ; -- End function
	.section	.AMDGPU.csdata,"",@progbits
; Kernel info:
; codeLenInByte = 464
; NumSgprs: 11
; NumVgprs: 37
; NumAgprs: 0
; TotalNumVgprs: 37
; ScratchSize: 0
; MemoryBound: 1
; FloatMode: 240
; IeeeMode: 1
; LDSByteSize: 0 bytes/workgroup (compile time only)
; SGPRBlocks: 1
; VGPRBlocks: 4
; NumSGPRsForWavesPerEU: 11
; NumVGPRsForWavesPerEU: 37
; AccumOffset: 40
; Occupancy: 8
; WaveLimiterHint : 1
; COMPUTE_PGM_RSRC2:SCRATCH_EN: 0
; COMPUTE_PGM_RSRC2:USER_SGPR: 6
; COMPUTE_PGM_RSRC2:TRAP_HANDLER: 0
; COMPUTE_PGM_RSRC2:TGID_X_EN: 1
; COMPUTE_PGM_RSRC2:TGID_Y_EN: 0
; COMPUTE_PGM_RSRC2:TGID_Z_EN: 0
; COMPUTE_PGM_RSRC2:TIDIG_COMP_CNT: 0
; COMPUTE_PGM_RSRC3_GFX90A:ACCUM_OFFSET: 9
; COMPUTE_PGM_RSRC3_GFX90A:TG_SPLIT: 0
	.section	.text._Z16warp_load_kernelILj256ELj8ELj32ELN6hipcub17WarpLoadAlgorithmE2EdEvPT3_S3_,"axG",@progbits,_Z16warp_load_kernelILj256ELj8ELj32ELN6hipcub17WarpLoadAlgorithmE2EdEvPT3_S3_,comdat
	.protected	_Z16warp_load_kernelILj256ELj8ELj32ELN6hipcub17WarpLoadAlgorithmE2EdEvPT3_S3_ ; -- Begin function _Z16warp_load_kernelILj256ELj8ELj32ELN6hipcub17WarpLoadAlgorithmE2EdEvPT3_S3_
	.globl	_Z16warp_load_kernelILj256ELj8ELj32ELN6hipcub17WarpLoadAlgorithmE2EdEvPT3_S3_
	.p2align	8
	.type	_Z16warp_load_kernelILj256ELj8ELj32ELN6hipcub17WarpLoadAlgorithmE2EdEvPT3_S3_,@function
_Z16warp_load_kernelILj256ELj8ELj32ELN6hipcub17WarpLoadAlgorithmE2EdEvPT3_S3_: ; @_Z16warp_load_kernelILj256ELj8ELj32ELN6hipcub17WarpLoadAlgorithmE2EdEvPT3_S3_
; %bb.0:
	s_load_dwordx4 s[0:3], s[4:5], 0x0
	v_lshlrev_b32_e32 v2, 3, v0
	s_lshl_b32 s4, s6, 11
	v_and_b32_e32 v2, 0x700, v2
	v_mbcnt_lo_u32_b32 v1, -1, 0
	v_or_b32_e32 v18, s4, v2
	v_mov_b32_e32 v19, 0
	v_mbcnt_hi_u32_b32 v1, -1, v1
	v_lshlrev_b64 v[2:3], 3, v[18:19]
	s_waitcnt lgkmcnt(0)
	v_mov_b32_e32 v4, s1
	v_add_co_u32_e32 v2, vcc, s0, v2
	v_lshlrev_b32_e32 v1, 6, v1
	v_addc_co_u32_e32 v3, vcc, v4, v3, vcc
	v_and_b32_e32 v1, 0x7c0, v1
	v_add_co_u32_e32 v20, vcc, v2, v1
	v_addc_co_u32_e32 v21, vcc, 0, v3, vcc
	global_load_dwordx4 v[2:5], v[20:21], off
	global_load_dwordx4 v[6:9], v[20:21], off offset:16
	global_load_dwordx4 v[10:13], v[20:21], off offset:32
	;; [unrolled: 1-line block ×3, first 2 shown]
	v_or_b32_e32 v18, s4, v0
	v_lshlrev_b64 v[28:29], 3, v[18:19]
	v_mov_b32_e32 v1, v19
	v_or_b32_e32 v0, 0x200, v18
	v_mov_b32_e32 v30, s3
	v_add_co_u32_e32 v28, vcc, s2, v28
	v_lshlrev_b64 v[0:1], 3, v[0:1]
	v_addc_co_u32_e32 v29, vcc, v30, v29, vcc
	v_mov_b32_e32 v21, v19
	v_or_b32_e32 v20, 0x300, v18
	v_mov_b32_e32 v31, s3
	v_add_co_u32_e32 v0, vcc, s2, v0
	v_lshlrev_b64 v[20:21], 3, v[20:21]
	v_addc_co_u32_e32 v1, vcc, v31, v1, vcc
	;; [unrolled: 6-line block ×5, first 2 shown]
	v_or_b32_e32 v18, 0x700, v18
	v_mov_b32_e32 v35, s3
	v_add_co_u32_e32 v26, vcc, s2, v26
	v_lshlrev_b64 v[18:19], 3, v[18:19]
	v_addc_co_u32_e32 v27, vcc, v35, v27, vcc
	v_mov_b32_e32 v36, s3
	v_add_co_u32_e32 v18, vcc, s2, v18
	v_addc_co_u32_e32 v19, vcc, v36, v19, vcc
	s_waitcnt vmcnt(3)
	global_store_dwordx2 v[28:29], v[2:3], off
	global_store_dwordx2 v[28:29], v[4:5], off offset:2048
	s_waitcnt vmcnt(4)
	global_store_dwordx2 v[0:1], v[6:7], off
	global_store_dwordx2 v[20:21], v[8:9], off
	s_waitcnt vmcnt(5)
	global_store_dwordx2 v[22:23], v[10:11], off
	global_store_dwordx2 v[24:25], v[12:13], off
	s_waitcnt vmcnt(6)
	global_store_dwordx2 v[26:27], v[14:15], off
	global_store_dwordx2 v[18:19], v[16:17], off
	s_endpgm
	.section	.rodata,"a",@progbits
	.p2align	6, 0x0
	.amdhsa_kernel _Z16warp_load_kernelILj256ELj8ELj32ELN6hipcub17WarpLoadAlgorithmE2EdEvPT3_S3_
		.amdhsa_group_segment_fixed_size 0
		.amdhsa_private_segment_fixed_size 0
		.amdhsa_kernarg_size 16
		.amdhsa_user_sgpr_count 6
		.amdhsa_user_sgpr_private_segment_buffer 1
		.amdhsa_user_sgpr_dispatch_ptr 0
		.amdhsa_user_sgpr_queue_ptr 0
		.amdhsa_user_sgpr_kernarg_segment_ptr 1
		.amdhsa_user_sgpr_dispatch_id 0
		.amdhsa_user_sgpr_flat_scratch_init 0
		.amdhsa_user_sgpr_kernarg_preload_length 0
		.amdhsa_user_sgpr_kernarg_preload_offset 0
		.amdhsa_user_sgpr_private_segment_size 0
		.amdhsa_uses_dynamic_stack 0
		.amdhsa_system_sgpr_private_segment_wavefront_offset 0
		.amdhsa_system_sgpr_workgroup_id_x 1
		.amdhsa_system_sgpr_workgroup_id_y 0
		.amdhsa_system_sgpr_workgroup_id_z 0
		.amdhsa_system_sgpr_workgroup_info 0
		.amdhsa_system_vgpr_workitem_id 0
		.amdhsa_next_free_vgpr 37
		.amdhsa_next_free_sgpr 7
		.amdhsa_accum_offset 40
		.amdhsa_reserve_vcc 1
		.amdhsa_reserve_flat_scratch 0
		.amdhsa_float_round_mode_32 0
		.amdhsa_float_round_mode_16_64 0
		.amdhsa_float_denorm_mode_32 3
		.amdhsa_float_denorm_mode_16_64 3
		.amdhsa_dx10_clamp 1
		.amdhsa_ieee_mode 1
		.amdhsa_fp16_overflow 0
		.amdhsa_tg_split 0
		.amdhsa_exception_fp_ieee_invalid_op 0
		.amdhsa_exception_fp_denorm_src 0
		.amdhsa_exception_fp_ieee_div_zero 0
		.amdhsa_exception_fp_ieee_overflow 0
		.amdhsa_exception_fp_ieee_underflow 0
		.amdhsa_exception_fp_ieee_inexact 0
		.amdhsa_exception_int_div_zero 0
	.end_amdhsa_kernel
	.section	.text._Z16warp_load_kernelILj256ELj8ELj32ELN6hipcub17WarpLoadAlgorithmE2EdEvPT3_S3_,"axG",@progbits,_Z16warp_load_kernelILj256ELj8ELj32ELN6hipcub17WarpLoadAlgorithmE2EdEvPT3_S3_,comdat
.Lfunc_end25:
	.size	_Z16warp_load_kernelILj256ELj8ELj32ELN6hipcub17WarpLoadAlgorithmE2EdEvPT3_S3_, .Lfunc_end25-_Z16warp_load_kernelILj256ELj8ELj32ELN6hipcub17WarpLoadAlgorithmE2EdEvPT3_S3_
                                        ; -- End function
	.section	.AMDGPU.csdata,"",@progbits
; Kernel info:
; codeLenInByte = 420
; NumSgprs: 11
; NumVgprs: 37
; NumAgprs: 0
; TotalNumVgprs: 37
; ScratchSize: 0
; MemoryBound: 0
; FloatMode: 240
; IeeeMode: 1
; LDSByteSize: 0 bytes/workgroup (compile time only)
; SGPRBlocks: 1
; VGPRBlocks: 4
; NumSGPRsForWavesPerEU: 11
; NumVGPRsForWavesPerEU: 37
; AccumOffset: 40
; Occupancy: 8
; WaveLimiterHint : 1
; COMPUTE_PGM_RSRC2:SCRATCH_EN: 0
; COMPUTE_PGM_RSRC2:USER_SGPR: 6
; COMPUTE_PGM_RSRC2:TRAP_HANDLER: 0
; COMPUTE_PGM_RSRC2:TGID_X_EN: 1
; COMPUTE_PGM_RSRC2:TGID_Y_EN: 0
; COMPUTE_PGM_RSRC2:TGID_Z_EN: 0
; COMPUTE_PGM_RSRC2:TIDIG_COMP_CNT: 0
; COMPUTE_PGM_RSRC3_GFX90A:ACCUM_OFFSET: 9
; COMPUTE_PGM_RSRC3_GFX90A:TG_SPLIT: 0
	.section	.text._Z16warp_load_kernelILj256ELj8ELj32ELN6hipcub17WarpLoadAlgorithmE3EdEvPT3_S3_,"axG",@progbits,_Z16warp_load_kernelILj256ELj8ELj32ELN6hipcub17WarpLoadAlgorithmE3EdEvPT3_S3_,comdat
	.protected	_Z16warp_load_kernelILj256ELj8ELj32ELN6hipcub17WarpLoadAlgorithmE3EdEvPT3_S3_ ; -- Begin function _Z16warp_load_kernelILj256ELj8ELj32ELN6hipcub17WarpLoadAlgorithmE3EdEvPT3_S3_
	.globl	_Z16warp_load_kernelILj256ELj8ELj32ELN6hipcub17WarpLoadAlgorithmE3EdEvPT3_S3_
	.p2align	8
	.type	_Z16warp_load_kernelILj256ELj8ELj32ELN6hipcub17WarpLoadAlgorithmE3EdEvPT3_S3_,@function
_Z16warp_load_kernelILj256ELj8ELj32ELN6hipcub17WarpLoadAlgorithmE3EdEvPT3_S3_: ; @_Z16warp_load_kernelILj256ELj8ELj32ELN6hipcub17WarpLoadAlgorithmE3EdEvPT3_S3_
; %bb.0:
	s_load_dwordx4 s[0:3], s[4:5], 0x0
	v_lshrrev_b32_e32 v22, 5, v0
	s_lshl_b32 s4, s6, 11
	v_mbcnt_lo_u32_b32 v1, -1, 0
	v_lshl_or_b32 v16, v22, 8, s4
	v_mov_b32_e32 v17, 0
	v_mbcnt_hi_u32_b32 v1, -1, v1
	v_lshlrev_b64 v[2:3], 3, v[16:17]
	v_and_b32_e32 v30, 31, v1
	s_waitcnt lgkmcnt(0)
	v_mov_b32_e32 v1, s1
	v_add_co_u32_e32 v2, vcc, s0, v2
	v_addc_co_u32_e32 v1, vcc, v1, v3, vcc
	v_lshlrev_b32_e32 v24, 3, v30
	v_add_co_u32_e32 v2, vcc, v2, v24
	v_addc_co_u32_e32 v3, vcc, 0, v1, vcc
	global_load_dwordx2 v[4:5], v[2:3], off
	global_load_dwordx2 v[6:7], v[2:3], off offset:256
	global_load_dwordx2 v[8:9], v[2:3], off offset:512
	;; [unrolled: 1-line block ×7, first 2 shown]
	v_or_b32_e32 v16, s4, v0
	v_lshl_or_b32 v34, v22, 11, v24
	v_lshlrev_b64 v[28:29], 3, v[16:17]
	v_mov_b32_e32 v1, v17
	v_or_b32_e32 v0, 0x200, v16
	v_mad_u32_u24 v35, v30, 56, v34
	v_mov_b32_e32 v30, s3
	v_add_co_u32_e32 v28, vcc, s2, v28
	v_lshlrev_b64 v[0:1], 3, v[0:1]
	v_addc_co_u32_e32 v29, vcc, v30, v29, vcc
	v_mov_b32_e32 v3, v17
	v_or_b32_e32 v2, 0x300, v16
	v_mov_b32_e32 v31, s3
	v_add_co_u32_e32 v30, vcc, s2, v0
	v_lshlrev_b64 v[2:3], 3, v[2:3]
	v_addc_co_u32_e32 v31, vcc, v31, v1, vcc
	v_mov_b32_e32 v23, v17
	v_or_b32_e32 v22, 0x400, v16
	;; [unrolled: 6-line block ×5, first 2 shown]
	s_waitcnt vmcnt(6)
	ds_write2_b64 v34, v[4:5], v[6:7] offset1:32
	s_waitcnt vmcnt(4)
	ds_write2_b64 v34, v[8:9], v[10:11] offset0:64 offset1:96
	s_waitcnt vmcnt(2)
	ds_write2_b64 v34, v[12:13], v[14:15] offset0:128 offset1:160
	s_waitcnt vmcnt(0)
	ds_write2_b64 v34, v[18:19], v[20:21] offset0:192 offset1:224
	; wave barrier
	ds_read_b128 v[0:3], v35
	ds_read_b128 v[4:7], v35 offset:16
	ds_read_b128 v[8:11], v35 offset:32
	;; [unrolled: 1-line block ×3, first 2 shown]
	v_add_co_u32_e32 v18, vcc, s2, v26
	v_addc_co_u32_e32 v19, vcc, v38, v27, vcc
	s_waitcnt lgkmcnt(3)
	global_store_dwordx2 v[28:29], v[0:1], off
	global_store_dwordx2 v[28:29], v[2:3], off offset:2048
	s_waitcnt lgkmcnt(2)
	global_store_dwordx2 v[30:31], v[4:5], off
	global_store_dwordx2 v[32:33], v[6:7], off
	s_waitcnt lgkmcnt(1)
	global_store_dwordx2 v[22:23], v[8:9], off
	global_store_dwordx2 v[24:25], v[10:11], off
	s_waitcnt lgkmcnt(0)
	global_store_dwordx2 v[18:19], v[12:13], off
	v_lshlrev_b64 v[0:1], 3, v[16:17]
	v_mov_b32_e32 v2, s3
	v_add_co_u32_e32 v0, vcc, s2, v0
	v_addc_co_u32_e32 v1, vcc, v2, v1, vcc
	global_store_dwordx2 v[0:1], v[14:15], off
	s_endpgm
	.section	.rodata,"a",@progbits
	.p2align	6, 0x0
	.amdhsa_kernel _Z16warp_load_kernelILj256ELj8ELj32ELN6hipcub17WarpLoadAlgorithmE3EdEvPT3_S3_
		.amdhsa_group_segment_fixed_size 16384
		.amdhsa_private_segment_fixed_size 0
		.amdhsa_kernarg_size 16
		.amdhsa_user_sgpr_count 6
		.amdhsa_user_sgpr_private_segment_buffer 1
		.amdhsa_user_sgpr_dispatch_ptr 0
		.amdhsa_user_sgpr_queue_ptr 0
		.amdhsa_user_sgpr_kernarg_segment_ptr 1
		.amdhsa_user_sgpr_dispatch_id 0
		.amdhsa_user_sgpr_flat_scratch_init 0
		.amdhsa_user_sgpr_kernarg_preload_length 0
		.amdhsa_user_sgpr_kernarg_preload_offset 0
		.amdhsa_user_sgpr_private_segment_size 0
		.amdhsa_uses_dynamic_stack 0
		.amdhsa_system_sgpr_private_segment_wavefront_offset 0
		.amdhsa_system_sgpr_workgroup_id_x 1
		.amdhsa_system_sgpr_workgroup_id_y 0
		.amdhsa_system_sgpr_workgroup_id_z 0
		.amdhsa_system_sgpr_workgroup_info 0
		.amdhsa_system_vgpr_workitem_id 0
		.amdhsa_next_free_vgpr 39
		.amdhsa_next_free_sgpr 7
		.amdhsa_accum_offset 40
		.amdhsa_reserve_vcc 1
		.amdhsa_reserve_flat_scratch 0
		.amdhsa_float_round_mode_32 0
		.amdhsa_float_round_mode_16_64 0
		.amdhsa_float_denorm_mode_32 3
		.amdhsa_float_denorm_mode_16_64 3
		.amdhsa_dx10_clamp 1
		.amdhsa_ieee_mode 1
		.amdhsa_fp16_overflow 0
		.amdhsa_tg_split 0
		.amdhsa_exception_fp_ieee_invalid_op 0
		.amdhsa_exception_fp_denorm_src 0
		.amdhsa_exception_fp_ieee_div_zero 0
		.amdhsa_exception_fp_ieee_overflow 0
		.amdhsa_exception_fp_ieee_underflow 0
		.amdhsa_exception_fp_ieee_inexact 0
		.amdhsa_exception_int_div_zero 0
	.end_amdhsa_kernel
	.section	.text._Z16warp_load_kernelILj256ELj8ELj32ELN6hipcub17WarpLoadAlgorithmE3EdEvPT3_S3_,"axG",@progbits,_Z16warp_load_kernelILj256ELj8ELj32ELN6hipcub17WarpLoadAlgorithmE3EdEvPT3_S3_,comdat
.Lfunc_end26:
	.size	_Z16warp_load_kernelILj256ELj8ELj32ELN6hipcub17WarpLoadAlgorithmE3EdEvPT3_S3_, .Lfunc_end26-_Z16warp_load_kernelILj256ELj8ELj32ELN6hipcub17WarpLoadAlgorithmE3EdEvPT3_S3_
                                        ; -- End function
	.section	.AMDGPU.csdata,"",@progbits
; Kernel info:
; codeLenInByte = 540
; NumSgprs: 11
; NumVgprs: 39
; NumAgprs: 0
; TotalNumVgprs: 39
; ScratchSize: 0
; MemoryBound: 1
; FloatMode: 240
; IeeeMode: 1
; LDSByteSize: 16384 bytes/workgroup (compile time only)
; SGPRBlocks: 1
; VGPRBlocks: 4
; NumSGPRsForWavesPerEU: 11
; NumVGPRsForWavesPerEU: 39
; AccumOffset: 40
; Occupancy: 4
; WaveLimiterHint : 1
; COMPUTE_PGM_RSRC2:SCRATCH_EN: 0
; COMPUTE_PGM_RSRC2:USER_SGPR: 6
; COMPUTE_PGM_RSRC2:TRAP_HANDLER: 0
; COMPUTE_PGM_RSRC2:TGID_X_EN: 1
; COMPUTE_PGM_RSRC2:TGID_Y_EN: 0
; COMPUTE_PGM_RSRC2:TGID_Z_EN: 0
; COMPUTE_PGM_RSRC2:TIDIG_COMP_CNT: 0
; COMPUTE_PGM_RSRC3_GFX90A:ACCUM_OFFSET: 9
; COMPUTE_PGM_RSRC3_GFX90A:TG_SPLIT: 0
	.section	.text._Z16warp_load_kernelILj256ELj16ELj32ELN6hipcub17WarpLoadAlgorithmE0EdEvPT3_S3_,"axG",@progbits,_Z16warp_load_kernelILj256ELj16ELj32ELN6hipcub17WarpLoadAlgorithmE0EdEvPT3_S3_,comdat
	.protected	_Z16warp_load_kernelILj256ELj16ELj32ELN6hipcub17WarpLoadAlgorithmE0EdEvPT3_S3_ ; -- Begin function _Z16warp_load_kernelILj256ELj16ELj32ELN6hipcub17WarpLoadAlgorithmE0EdEvPT3_S3_
	.globl	_Z16warp_load_kernelILj256ELj16ELj32ELN6hipcub17WarpLoadAlgorithmE0EdEvPT3_S3_
	.p2align	8
	.type	_Z16warp_load_kernelILj256ELj16ELj32ELN6hipcub17WarpLoadAlgorithmE0EdEvPT3_S3_,@function
_Z16warp_load_kernelILj256ELj16ELj32ELN6hipcub17WarpLoadAlgorithmE0EdEvPT3_S3_: ; @_Z16warp_load_kernelILj256ELj16ELj32ELN6hipcub17WarpLoadAlgorithmE0EdEvPT3_S3_
; %bb.0:
	s_load_dwordx4 s[0:3], s[4:5], 0x0
	v_lshlrev_b32_e32 v2, 4, v0
	s_lshl_b32 s4, s6, 12
	v_and_b32_e32 v2, 0xe00, v2
	v_mbcnt_lo_u32_b32 v1, -1, 0
	v_or_b32_e32 v2, s4, v2
	v_mov_b32_e32 v3, 0
	v_mbcnt_hi_u32_b32 v1, -1, v1
	v_lshlrev_b64 v[4:5], 3, v[2:3]
	s_waitcnt lgkmcnt(0)
	v_mov_b32_e32 v2, s1
	v_add_co_u32_e32 v4, vcc, s0, v4
	v_lshlrev_b32_e32 v1, 7, v1
	v_addc_co_u32_e32 v2, vcc, v2, v5, vcc
	v_and_b32_e32 v1, 0xf80, v1
	v_add_co_u32_e32 v36, vcc, v4, v1
	v_addc_co_u32_e32 v37, vcc, 0, v2, vcc
	global_load_dwordx4 v[4:7], v[36:37], off
	global_load_dwordx4 v[8:11], v[36:37], off offset:16
	global_load_dwordx4 v[12:15], v[36:37], off offset:32
	;; [unrolled: 1-line block ×5, first 2 shown]
	v_or_b32_e32 v2, s4, v0
	v_mov_b32_e32 v29, v3
	v_mov_b32_e32 v31, v3
	;; [unrolled: 1-line block ×4, first 2 shown]
	v_or_b32_e32 v28, 0x300, v2
	v_or_b32_e32 v30, 0x400, v2
	;; [unrolled: 1-line block ×4, first 2 shown]
	v_lshlrev_b64 v[42:43], 3, v[28:29]
	v_lshlrev_b64 v[44:45], 3, v[30:31]
	;; [unrolled: 1-line block ×4, first 2 shown]
	global_load_dwordx4 v[28:31], v[36:37], off offset:112
	global_load_dwordx4 v[32:35], v[36:37], off offset:96
	v_lshlrev_b64 v[40:41], 3, v[2:3]
	v_mov_b32_e32 v1, v3
	v_or_b32_e32 v0, 0x200, v2
	v_mov_b32_e32 v50, s3
	v_add_co_u32_e32 v36, vcc, s2, v40
	v_lshlrev_b64 v[0:1], 3, v[0:1]
	v_addc_co_u32_e32 v37, vcc, v50, v41, vcc
	v_mov_b32_e32 v51, s3
	v_add_co_u32_e32 v0, vcc, s2, v0
	v_addc_co_u32_e32 v1, vcc, v51, v1, vcc
	v_mov_b32_e32 v52, s3
	v_add_co_u32_e32 v40, vcc, s2, v42
	;; [unrolled: 3-line block ×4, first 2 shown]
	v_addc_co_u32_e32 v45, vcc, v54, v47, vcc
	v_mov_b32_e32 v39, v3
	v_or_b32_e32 v38, 0x700, v2
	v_mov_b32_e32 v55, s3
	v_add_co_u32_e32 v46, vcc, s2, v48
	v_lshlrev_b64 v[38:39], 3, v[38:39]
	v_addc_co_u32_e32 v47, vcc, v55, v49, vcc
	v_mov_b32_e32 v56, s3
	s_waitcnt vmcnt(7)
	global_store_dwordx2 v[36:37], v[4:5], off
	global_store_dwordx2 v[36:37], v[6:7], off offset:2048
	s_waitcnt vmcnt(8)
	global_store_dwordx2 v[0:1], v[8:9], off
	global_store_dwordx2 v[40:41], v[10:11], off
	s_waitcnt vmcnt(9)
	global_store_dwordx2 v[42:43], v[12:13], off
	global_store_dwordx2 v[44:45], v[14:15], off
	s_waitcnt vmcnt(10)
	global_store_dwordx2 v[46:47], v[16:17], off
	v_add_co_u32_e32 v0, vcc, s2, v38
	v_addc_co_u32_e32 v1, vcc, v56, v39, vcc
	global_store_dwordx2 v[0:1], v[18:19], off
	v_or_b32_e32 v0, 0x800, v2
	v_mov_b32_e32 v1, v3
	v_lshlrev_b64 v[0:1], 3, v[0:1]
	v_mov_b32_e32 v4, s3
	v_add_co_u32_e32 v0, vcc, s2, v0
	v_addc_co_u32_e32 v1, vcc, v4, v1, vcc
	s_waitcnt vmcnt(11)
	global_store_dwordx2 v[0:1], v[20:21], off
	v_or_b32_e32 v0, 0x900, v2
	v_mov_b32_e32 v1, v3
	v_lshlrev_b64 v[0:1], 3, v[0:1]
	v_add_co_u32_e32 v0, vcc, s2, v0
	v_addc_co_u32_e32 v1, vcc, v4, v1, vcc
	global_store_dwordx2 v[0:1], v[22:23], off
	v_or_b32_e32 v0, 0xa00, v2
	v_mov_b32_e32 v1, v3
	v_lshlrev_b64 v[0:1], 3, v[0:1]
	v_add_co_u32_e32 v0, vcc, s2, v0
	v_addc_co_u32_e32 v1, vcc, v4, v1, vcc
	s_waitcnt vmcnt(12)
	global_store_dwordx2 v[0:1], v[24:25], off
	v_or_b32_e32 v0, 0xb00, v2
	v_mov_b32_e32 v1, v3
	v_lshlrev_b64 v[0:1], 3, v[0:1]
	v_add_co_u32_e32 v0, vcc, s2, v0
	v_addc_co_u32_e32 v1, vcc, v4, v1, vcc
	global_store_dwordx2 v[0:1], v[26:27], off
	v_or_b32_e32 v0, 0xc00, v2
	v_mov_b32_e32 v1, v3
	v_lshlrev_b64 v[0:1], 3, v[0:1]
	v_add_co_u32_e32 v0, vcc, s2, v0
	v_addc_co_u32_e32 v1, vcc, v4, v1, vcc
	s_waitcnt vmcnt(12)
	global_store_dwordx2 v[0:1], v[32:33], off
	v_or_b32_e32 v0, 0xd00, v2
	v_mov_b32_e32 v1, v3
	v_lshlrev_b64 v[0:1], 3, v[0:1]
	v_add_co_u32_e32 v0, vcc, s2, v0
	v_addc_co_u32_e32 v1, vcc, v4, v1, vcc
	global_store_dwordx2 v[0:1], v[34:35], off
	v_or_b32_e32 v0, 0xe00, v2
	v_mov_b32_e32 v1, v3
	v_lshlrev_b64 v[0:1], 3, v[0:1]
	v_add_co_u32_e32 v0, vcc, s2, v0
	v_addc_co_u32_e32 v1, vcc, v4, v1, vcc
	v_or_b32_e32 v2, 0xf00, v2
	global_store_dwordx2 v[0:1], v[28:29], off
	v_lshlrev_b64 v[0:1], 3, v[2:3]
	v_mov_b32_e32 v2, s3
	v_add_co_u32_e32 v0, vcc, s2, v0
	v_addc_co_u32_e32 v1, vcc, v2, v1, vcc
	global_store_dwordx2 v[0:1], v[30:31], off
	s_endpgm
	.section	.rodata,"a",@progbits
	.p2align	6, 0x0
	.amdhsa_kernel _Z16warp_load_kernelILj256ELj16ELj32ELN6hipcub17WarpLoadAlgorithmE0EdEvPT3_S3_
		.amdhsa_group_segment_fixed_size 0
		.amdhsa_private_segment_fixed_size 0
		.amdhsa_kernarg_size 16
		.amdhsa_user_sgpr_count 6
		.amdhsa_user_sgpr_private_segment_buffer 1
		.amdhsa_user_sgpr_dispatch_ptr 0
		.amdhsa_user_sgpr_queue_ptr 0
		.amdhsa_user_sgpr_kernarg_segment_ptr 1
		.amdhsa_user_sgpr_dispatch_id 0
		.amdhsa_user_sgpr_flat_scratch_init 0
		.amdhsa_user_sgpr_kernarg_preload_length 0
		.amdhsa_user_sgpr_kernarg_preload_offset 0
		.amdhsa_user_sgpr_private_segment_size 0
		.amdhsa_uses_dynamic_stack 0
		.amdhsa_system_sgpr_private_segment_wavefront_offset 0
		.amdhsa_system_sgpr_workgroup_id_x 1
		.amdhsa_system_sgpr_workgroup_id_y 0
		.amdhsa_system_sgpr_workgroup_id_z 0
		.amdhsa_system_sgpr_workgroup_info 0
		.amdhsa_system_vgpr_workitem_id 0
		.amdhsa_next_free_vgpr 57
		.amdhsa_next_free_sgpr 7
		.amdhsa_accum_offset 60
		.amdhsa_reserve_vcc 1
		.amdhsa_reserve_flat_scratch 0
		.amdhsa_float_round_mode_32 0
		.amdhsa_float_round_mode_16_64 0
		.amdhsa_float_denorm_mode_32 3
		.amdhsa_float_denorm_mode_16_64 3
		.amdhsa_dx10_clamp 1
		.amdhsa_ieee_mode 1
		.amdhsa_fp16_overflow 0
		.amdhsa_tg_split 0
		.amdhsa_exception_fp_ieee_invalid_op 0
		.amdhsa_exception_fp_denorm_src 0
		.amdhsa_exception_fp_ieee_div_zero 0
		.amdhsa_exception_fp_ieee_overflow 0
		.amdhsa_exception_fp_ieee_underflow 0
		.amdhsa_exception_fp_ieee_inexact 0
		.amdhsa_exception_int_div_zero 0
	.end_amdhsa_kernel
	.section	.text._Z16warp_load_kernelILj256ELj16ELj32ELN6hipcub17WarpLoadAlgorithmE0EdEvPT3_S3_,"axG",@progbits,_Z16warp_load_kernelILj256ELj16ELj32ELN6hipcub17WarpLoadAlgorithmE0EdEvPT3_S3_,comdat
.Lfunc_end27:
	.size	_Z16warp_load_kernelILj256ELj16ELj32ELN6hipcub17WarpLoadAlgorithmE0EdEvPT3_S3_, .Lfunc_end27-_Z16warp_load_kernelILj256ELj16ELj32ELN6hipcub17WarpLoadAlgorithmE0EdEvPT3_S3_
                                        ; -- End function
	.section	.AMDGPU.csdata,"",@progbits
; Kernel info:
; codeLenInByte = 760
; NumSgprs: 11
; NumVgprs: 57
; NumAgprs: 0
; TotalNumVgprs: 57
; ScratchSize: 0
; MemoryBound: 1
; FloatMode: 240
; IeeeMode: 1
; LDSByteSize: 0 bytes/workgroup (compile time only)
; SGPRBlocks: 1
; VGPRBlocks: 7
; NumSGPRsForWavesPerEU: 11
; NumVGPRsForWavesPerEU: 57
; AccumOffset: 60
; Occupancy: 8
; WaveLimiterHint : 1
; COMPUTE_PGM_RSRC2:SCRATCH_EN: 0
; COMPUTE_PGM_RSRC2:USER_SGPR: 6
; COMPUTE_PGM_RSRC2:TRAP_HANDLER: 0
; COMPUTE_PGM_RSRC2:TGID_X_EN: 1
; COMPUTE_PGM_RSRC2:TGID_Y_EN: 0
; COMPUTE_PGM_RSRC2:TGID_Z_EN: 0
; COMPUTE_PGM_RSRC2:TIDIG_COMP_CNT: 0
; COMPUTE_PGM_RSRC3_GFX90A:ACCUM_OFFSET: 14
; COMPUTE_PGM_RSRC3_GFX90A:TG_SPLIT: 0
	.section	.text._Z16warp_load_kernelILj256ELj16ELj32ELN6hipcub17WarpLoadAlgorithmE1EdEvPT3_S3_,"axG",@progbits,_Z16warp_load_kernelILj256ELj16ELj32ELN6hipcub17WarpLoadAlgorithmE1EdEvPT3_S3_,comdat
	.protected	_Z16warp_load_kernelILj256ELj16ELj32ELN6hipcub17WarpLoadAlgorithmE1EdEvPT3_S3_ ; -- Begin function _Z16warp_load_kernelILj256ELj16ELj32ELN6hipcub17WarpLoadAlgorithmE1EdEvPT3_S3_
	.globl	_Z16warp_load_kernelILj256ELj16ELj32ELN6hipcub17WarpLoadAlgorithmE1EdEvPT3_S3_
	.p2align	8
	.type	_Z16warp_load_kernelILj256ELj16ELj32ELN6hipcub17WarpLoadAlgorithmE1EdEvPT3_S3_,@function
_Z16warp_load_kernelILj256ELj16ELj32ELN6hipcub17WarpLoadAlgorithmE1EdEvPT3_S3_: ; @_Z16warp_load_kernelILj256ELj16ELj32ELN6hipcub17WarpLoadAlgorithmE1EdEvPT3_S3_
; %bb.0:
	s_load_dwordx4 s[0:3], s[4:5], 0x0
	v_lshlrev_b32_e32 v2, 4, v0
	s_lshl_b32 s4, s6, 12
	v_and_b32_e32 v2, 0xe00, v2
	v_mbcnt_lo_u32_b32 v1, -1, 0
	v_or_b32_e32 v2, s4, v2
	v_mov_b32_e32 v3, 0
	v_mbcnt_hi_u32_b32 v1, -1, v1
	v_lshlrev_b64 v[4:5], 3, v[2:3]
	v_and_b32_e32 v1, 31, v1
	s_waitcnt lgkmcnt(0)
	v_mov_b32_e32 v2, s1
	v_add_co_u32_e32 v4, vcc, s0, v4
	v_addc_co_u32_e32 v2, vcc, v2, v5, vcc
	v_lshlrev_b32_e32 v1, 3, v1
	v_add_co_u32_e32 v4, vcc, v4, v1
	v_addc_co_u32_e32 v5, vcc, 0, v2, vcc
	global_load_dwordx2 v[6:7], v[4:5], off
	global_load_dwordx2 v[8:9], v[4:5], off offset:256
	global_load_dwordx2 v[10:11], v[4:5], off offset:512
	;; [unrolled: 1-line block ×11, first 2 shown]
	v_or_b32_e32 v2, s4, v0
	v_lshlrev_b64 v[32:33], 3, v[2:3]
	v_mov_b32_e32 v1, v3
	v_or_b32_e32 v0, 0x200, v2
	v_mov_b32_e32 v40, s3
	v_add_co_u32_e32 v32, vcc, s2, v32
	v_lshlrev_b64 v[0:1], 3, v[0:1]
	v_addc_co_u32_e32 v33, vcc, v40, v33, vcc
	v_mov_b32_e32 v25, v3
	v_or_b32_e32 v24, 0x300, v2
	v_mov_b32_e32 v41, s3
	v_add_co_u32_e32 v0, vcc, s2, v0
	v_lshlrev_b64 v[24:25], 3, v[24:25]
	v_addc_co_u32_e32 v1, vcc, v41, v1, vcc
	global_load_dwordx2 v[40:41], v[4:5], off offset:3072
	v_mov_b32_e32 v27, v3
	v_or_b32_e32 v26, 0x400, v2
	v_mov_b32_e32 v42, s3
	v_add_co_u32_e32 v24, vcc, s2, v24
	v_lshlrev_b64 v[26:27], 3, v[26:27]
	v_addc_co_u32_e32 v25, vcc, v42, v25, vcc
	v_mov_b32_e32 v43, s3
	v_add_co_u32_e32 v26, vcc, s2, v26
	v_addc_co_u32_e32 v27, vcc, v43, v27, vcc
	global_load_dwordx2 v[42:43], v[4:5], off offset:3328
	v_mov_b32_e32 v29, v3
	v_or_b32_e32 v28, 0x500, v2
	v_lshlrev_b64 v[28:29], 3, v[28:29]
	v_mov_b32_e32 v44, s3
	v_add_co_u32_e32 v28, vcc, s2, v28
	v_addc_co_u32_e32 v29, vcc, v44, v29, vcc
	global_load_dwordx2 v[44:45], v[4:5], off offset:3584
	global_load_dwordx2 v[46:47], v[4:5], off offset:3840
	v_mov_b32_e32 v31, v3
	v_or_b32_e32 v30, 0x600, v2
	v_lshlrev_b64 v[30:31], 3, v[30:31]
	v_mov_b32_e32 v48, s3
	v_mov_b32_e32 v4, s3
	s_waitcnt vmcnt(15)
	global_store_dwordx2 v[32:33], v[6:7], off
	s_waitcnt vmcnt(15)
	global_store_dwordx2 v[32:33], v[8:9], off offset:2048
	s_waitcnt vmcnt(15)
	global_store_dwordx2 v[0:1], v[10:11], off
	s_waitcnt vmcnt(15)
	global_store_dwordx2 v[24:25], v[12:13], off
	;; [unrolled: 2-line block ×4, first 2 shown]
	v_add_co_u32_e32 v0, vcc, s2, v30
	v_addc_co_u32_e32 v1, vcc, v48, v31, vcc
	s_waitcnt vmcnt(15)
	global_store_dwordx2 v[0:1], v[18:19], off
	v_or_b32_e32 v0, 0x700, v2
	v_mov_b32_e32 v1, v3
	v_lshlrev_b64 v[0:1], 3, v[0:1]
	v_add_co_u32_e32 v0, vcc, s2, v0
	v_addc_co_u32_e32 v1, vcc, v4, v1, vcc
	s_waitcnt vmcnt(15)
	global_store_dwordx2 v[0:1], v[20:21], off
	v_or_b32_e32 v0, 0x800, v2
	v_mov_b32_e32 v1, v3
	v_lshlrev_b64 v[0:1], 3, v[0:1]
	v_add_co_u32_e32 v0, vcc, s2, v0
	v_addc_co_u32_e32 v1, vcc, v4, v1, vcc
	s_waitcnt vmcnt(15)
	global_store_dwordx2 v[0:1], v[22:23], off
	v_or_b32_e32 v0, 0x900, v2
	v_mov_b32_e32 v1, v3
	v_lshlrev_b64 v[0:1], 3, v[0:1]
	v_add_co_u32_e32 v0, vcc, s2, v0
	v_addc_co_u32_e32 v1, vcc, v4, v1, vcc
	s_waitcnt vmcnt(15)
	global_store_dwordx2 v[0:1], v[34:35], off
	v_or_b32_e32 v0, 0xa00, v2
	v_mov_b32_e32 v1, v3
	v_lshlrev_b64 v[0:1], 3, v[0:1]
	v_add_co_u32_e32 v0, vcc, s2, v0
	v_addc_co_u32_e32 v1, vcc, v4, v1, vcc
	s_waitcnt vmcnt(15)
	global_store_dwordx2 v[0:1], v[36:37], off
	v_or_b32_e32 v0, 0xb00, v2
	v_mov_b32_e32 v1, v3
	v_lshlrev_b64 v[0:1], 3, v[0:1]
	v_add_co_u32_e32 v0, vcc, s2, v0
	v_addc_co_u32_e32 v1, vcc, v4, v1, vcc
	s_waitcnt vmcnt(15)
	global_store_dwordx2 v[0:1], v[38:39], off
	v_or_b32_e32 v0, 0xc00, v2
	v_mov_b32_e32 v1, v3
	v_lshlrev_b64 v[0:1], 3, v[0:1]
	v_add_co_u32_e32 v0, vcc, s2, v0
	v_addc_co_u32_e32 v1, vcc, v4, v1, vcc
	s_waitcnt vmcnt(15)
	global_store_dwordx2 v[0:1], v[40:41], off
	v_or_b32_e32 v0, 0xd00, v2
	v_mov_b32_e32 v1, v3
	v_lshlrev_b64 v[0:1], 3, v[0:1]
	v_add_co_u32_e32 v0, vcc, s2, v0
	v_addc_co_u32_e32 v1, vcc, v4, v1, vcc
	s_waitcnt vmcnt(15)
	global_store_dwordx2 v[0:1], v[42:43], off
	v_or_b32_e32 v0, 0xe00, v2
	v_mov_b32_e32 v1, v3
	v_lshlrev_b64 v[0:1], 3, v[0:1]
	v_add_co_u32_e32 v0, vcc, s2, v0
	v_addc_co_u32_e32 v1, vcc, v4, v1, vcc
	v_or_b32_e32 v2, 0xf00, v2
	s_waitcnt vmcnt(15)
	global_store_dwordx2 v[0:1], v[44:45], off
	v_lshlrev_b64 v[0:1], 3, v[2:3]
	v_mov_b32_e32 v2, s3
	v_add_co_u32_e32 v0, vcc, s2, v0
	v_addc_co_u32_e32 v1, vcc, v2, v1, vcc
	s_waitcnt vmcnt(15)
	global_store_dwordx2 v[0:1], v[46:47], off
	s_endpgm
	.section	.rodata,"a",@progbits
	.p2align	6, 0x0
	.amdhsa_kernel _Z16warp_load_kernelILj256ELj16ELj32ELN6hipcub17WarpLoadAlgorithmE1EdEvPT3_S3_
		.amdhsa_group_segment_fixed_size 0
		.amdhsa_private_segment_fixed_size 0
		.amdhsa_kernarg_size 16
		.amdhsa_user_sgpr_count 6
		.amdhsa_user_sgpr_private_segment_buffer 1
		.amdhsa_user_sgpr_dispatch_ptr 0
		.amdhsa_user_sgpr_queue_ptr 0
		.amdhsa_user_sgpr_kernarg_segment_ptr 1
		.amdhsa_user_sgpr_dispatch_id 0
		.amdhsa_user_sgpr_flat_scratch_init 0
		.amdhsa_user_sgpr_kernarg_preload_length 0
		.amdhsa_user_sgpr_kernarg_preload_offset 0
		.amdhsa_user_sgpr_private_segment_size 0
		.amdhsa_uses_dynamic_stack 0
		.amdhsa_system_sgpr_private_segment_wavefront_offset 0
		.amdhsa_system_sgpr_workgroup_id_x 1
		.amdhsa_system_sgpr_workgroup_id_y 0
		.amdhsa_system_sgpr_workgroup_id_z 0
		.amdhsa_system_sgpr_workgroup_info 0
		.amdhsa_system_vgpr_workitem_id 0
		.amdhsa_next_free_vgpr 49
		.amdhsa_next_free_sgpr 7
		.amdhsa_accum_offset 52
		.amdhsa_reserve_vcc 1
		.amdhsa_reserve_flat_scratch 0
		.amdhsa_float_round_mode_32 0
		.amdhsa_float_round_mode_16_64 0
		.amdhsa_float_denorm_mode_32 3
		.amdhsa_float_denorm_mode_16_64 3
		.amdhsa_dx10_clamp 1
		.amdhsa_ieee_mode 1
		.amdhsa_fp16_overflow 0
		.amdhsa_tg_split 0
		.amdhsa_exception_fp_ieee_invalid_op 0
		.amdhsa_exception_fp_denorm_src 0
		.amdhsa_exception_fp_ieee_div_zero 0
		.amdhsa_exception_fp_ieee_overflow 0
		.amdhsa_exception_fp_ieee_underflow 0
		.amdhsa_exception_fp_ieee_inexact 0
		.amdhsa_exception_int_div_zero 0
	.end_amdhsa_kernel
	.section	.text._Z16warp_load_kernelILj256ELj16ELj32ELN6hipcub17WarpLoadAlgorithmE1EdEvPT3_S3_,"axG",@progbits,_Z16warp_load_kernelILj256ELj16ELj32ELN6hipcub17WarpLoadAlgorithmE1EdEvPT3_S3_,comdat
.Lfunc_end28:
	.size	_Z16warp_load_kernelILj256ELj16ELj32ELN6hipcub17WarpLoadAlgorithmE1EdEvPT3_S3_, .Lfunc_end28-_Z16warp_load_kernelILj256ELj16ELj32ELN6hipcub17WarpLoadAlgorithmE1EdEvPT3_S3_
                                        ; -- End function
	.section	.AMDGPU.csdata,"",@progbits
; Kernel info:
; codeLenInByte = 852
; NumSgprs: 11
; NumVgprs: 49
; NumAgprs: 0
; TotalNumVgprs: 49
; ScratchSize: 0
; MemoryBound: 1
; FloatMode: 240
; IeeeMode: 1
; LDSByteSize: 0 bytes/workgroup (compile time only)
; SGPRBlocks: 1
; VGPRBlocks: 6
; NumSGPRsForWavesPerEU: 11
; NumVGPRsForWavesPerEU: 49
; AccumOffset: 52
; Occupancy: 8
; WaveLimiterHint : 1
; COMPUTE_PGM_RSRC2:SCRATCH_EN: 0
; COMPUTE_PGM_RSRC2:USER_SGPR: 6
; COMPUTE_PGM_RSRC2:TRAP_HANDLER: 0
; COMPUTE_PGM_RSRC2:TGID_X_EN: 1
; COMPUTE_PGM_RSRC2:TGID_Y_EN: 0
; COMPUTE_PGM_RSRC2:TGID_Z_EN: 0
; COMPUTE_PGM_RSRC2:TIDIG_COMP_CNT: 0
; COMPUTE_PGM_RSRC3_GFX90A:ACCUM_OFFSET: 12
; COMPUTE_PGM_RSRC3_GFX90A:TG_SPLIT: 0
	.section	.text._Z16warp_load_kernelILj256ELj16ELj32ELN6hipcub17WarpLoadAlgorithmE2EdEvPT3_S3_,"axG",@progbits,_Z16warp_load_kernelILj256ELj16ELj32ELN6hipcub17WarpLoadAlgorithmE2EdEvPT3_S3_,comdat
	.protected	_Z16warp_load_kernelILj256ELj16ELj32ELN6hipcub17WarpLoadAlgorithmE2EdEvPT3_S3_ ; -- Begin function _Z16warp_load_kernelILj256ELj16ELj32ELN6hipcub17WarpLoadAlgorithmE2EdEvPT3_S3_
	.globl	_Z16warp_load_kernelILj256ELj16ELj32ELN6hipcub17WarpLoadAlgorithmE2EdEvPT3_S3_
	.p2align	8
	.type	_Z16warp_load_kernelILj256ELj16ELj32ELN6hipcub17WarpLoadAlgorithmE2EdEvPT3_S3_,@function
_Z16warp_load_kernelILj256ELj16ELj32ELN6hipcub17WarpLoadAlgorithmE2EdEvPT3_S3_: ; @_Z16warp_load_kernelILj256ELj16ELj32ELN6hipcub17WarpLoadAlgorithmE2EdEvPT3_S3_
; %bb.0:
	s_load_dwordx4 s[0:3], s[4:5], 0x0
	v_lshlrev_b32_e32 v2, 4, v0
	s_lshl_b32 s4, s6, 12
	v_and_b32_e32 v2, 0xe00, v2
	v_mbcnt_lo_u32_b32 v1, -1, 0
	v_or_b32_e32 v2, s4, v2
	v_mov_b32_e32 v3, 0
	v_mbcnt_hi_u32_b32 v1, -1, v1
	v_lshlrev_b64 v[4:5], 3, v[2:3]
	s_waitcnt lgkmcnt(0)
	v_mov_b32_e32 v2, s1
	v_add_co_u32_e32 v4, vcc, s0, v4
	v_lshlrev_b32_e32 v1, 7, v1
	v_addc_co_u32_e32 v2, vcc, v2, v5, vcc
	v_and_b32_e32 v1, 0xf80, v1
	v_add_co_u32_e32 v36, vcc, v4, v1
	v_addc_co_u32_e32 v37, vcc, 0, v2, vcc
	global_load_dwordx4 v[4:7], v[36:37], off
	global_load_dwordx4 v[8:11], v[36:37], off offset:16
	global_load_dwordx4 v[12:15], v[36:37], off offset:32
	;; [unrolled: 1-line block ×5, first 2 shown]
	v_or_b32_e32 v2, s4, v0
	v_mov_b32_e32 v29, v3
	v_mov_b32_e32 v31, v3
	;; [unrolled: 1-line block ×4, first 2 shown]
	v_or_b32_e32 v28, 0x300, v2
	v_or_b32_e32 v30, 0x400, v2
	;; [unrolled: 1-line block ×4, first 2 shown]
	v_lshlrev_b64 v[42:43], 3, v[28:29]
	v_lshlrev_b64 v[44:45], 3, v[30:31]
	;; [unrolled: 1-line block ×4, first 2 shown]
	global_load_dwordx4 v[28:31], v[36:37], off offset:112
	global_load_dwordx4 v[32:35], v[36:37], off offset:96
	v_lshlrev_b64 v[40:41], 3, v[2:3]
	v_mov_b32_e32 v1, v3
	v_or_b32_e32 v0, 0x200, v2
	v_mov_b32_e32 v50, s3
	v_add_co_u32_e32 v36, vcc, s2, v40
	v_lshlrev_b64 v[0:1], 3, v[0:1]
	v_addc_co_u32_e32 v37, vcc, v50, v41, vcc
	v_mov_b32_e32 v51, s3
	v_add_co_u32_e32 v0, vcc, s2, v0
	v_addc_co_u32_e32 v1, vcc, v51, v1, vcc
	v_mov_b32_e32 v52, s3
	v_add_co_u32_e32 v40, vcc, s2, v42
	;; [unrolled: 3-line block ×4, first 2 shown]
	v_addc_co_u32_e32 v45, vcc, v54, v47, vcc
	v_mov_b32_e32 v39, v3
	v_or_b32_e32 v38, 0x700, v2
	v_mov_b32_e32 v55, s3
	v_add_co_u32_e32 v46, vcc, s2, v48
	v_lshlrev_b64 v[38:39], 3, v[38:39]
	v_addc_co_u32_e32 v47, vcc, v55, v49, vcc
	v_mov_b32_e32 v56, s3
	s_waitcnt vmcnt(7)
	global_store_dwordx2 v[36:37], v[4:5], off
	global_store_dwordx2 v[36:37], v[6:7], off offset:2048
	s_waitcnt vmcnt(8)
	global_store_dwordx2 v[0:1], v[8:9], off
	global_store_dwordx2 v[40:41], v[10:11], off
	s_waitcnt vmcnt(9)
	global_store_dwordx2 v[42:43], v[12:13], off
	global_store_dwordx2 v[44:45], v[14:15], off
	s_waitcnt vmcnt(10)
	global_store_dwordx2 v[46:47], v[16:17], off
	v_add_co_u32_e32 v0, vcc, s2, v38
	v_addc_co_u32_e32 v1, vcc, v56, v39, vcc
	global_store_dwordx2 v[0:1], v[18:19], off
	v_or_b32_e32 v0, 0x800, v2
	v_mov_b32_e32 v1, v3
	v_lshlrev_b64 v[0:1], 3, v[0:1]
	v_mov_b32_e32 v4, s3
	v_add_co_u32_e32 v0, vcc, s2, v0
	v_addc_co_u32_e32 v1, vcc, v4, v1, vcc
	s_waitcnt vmcnt(11)
	global_store_dwordx2 v[0:1], v[20:21], off
	v_or_b32_e32 v0, 0x900, v2
	v_mov_b32_e32 v1, v3
	v_lshlrev_b64 v[0:1], 3, v[0:1]
	v_add_co_u32_e32 v0, vcc, s2, v0
	v_addc_co_u32_e32 v1, vcc, v4, v1, vcc
	global_store_dwordx2 v[0:1], v[22:23], off
	v_or_b32_e32 v0, 0xa00, v2
	v_mov_b32_e32 v1, v3
	v_lshlrev_b64 v[0:1], 3, v[0:1]
	v_add_co_u32_e32 v0, vcc, s2, v0
	v_addc_co_u32_e32 v1, vcc, v4, v1, vcc
	s_waitcnt vmcnt(12)
	global_store_dwordx2 v[0:1], v[24:25], off
	v_or_b32_e32 v0, 0xb00, v2
	v_mov_b32_e32 v1, v3
	v_lshlrev_b64 v[0:1], 3, v[0:1]
	v_add_co_u32_e32 v0, vcc, s2, v0
	v_addc_co_u32_e32 v1, vcc, v4, v1, vcc
	global_store_dwordx2 v[0:1], v[26:27], off
	v_or_b32_e32 v0, 0xc00, v2
	v_mov_b32_e32 v1, v3
	v_lshlrev_b64 v[0:1], 3, v[0:1]
	;; [unrolled: 13-line block ×3, first 2 shown]
	v_add_co_u32_e32 v0, vcc, s2, v0
	v_addc_co_u32_e32 v1, vcc, v4, v1, vcc
	v_or_b32_e32 v2, 0xf00, v2
	global_store_dwordx2 v[0:1], v[28:29], off
	v_lshlrev_b64 v[0:1], 3, v[2:3]
	v_mov_b32_e32 v2, s3
	v_add_co_u32_e32 v0, vcc, s2, v0
	v_addc_co_u32_e32 v1, vcc, v2, v1, vcc
	global_store_dwordx2 v[0:1], v[30:31], off
	s_endpgm
	.section	.rodata,"a",@progbits
	.p2align	6, 0x0
	.amdhsa_kernel _Z16warp_load_kernelILj256ELj16ELj32ELN6hipcub17WarpLoadAlgorithmE2EdEvPT3_S3_
		.amdhsa_group_segment_fixed_size 0
		.amdhsa_private_segment_fixed_size 0
		.amdhsa_kernarg_size 16
		.amdhsa_user_sgpr_count 6
		.amdhsa_user_sgpr_private_segment_buffer 1
		.amdhsa_user_sgpr_dispatch_ptr 0
		.amdhsa_user_sgpr_queue_ptr 0
		.amdhsa_user_sgpr_kernarg_segment_ptr 1
		.amdhsa_user_sgpr_dispatch_id 0
		.amdhsa_user_sgpr_flat_scratch_init 0
		.amdhsa_user_sgpr_kernarg_preload_length 0
		.amdhsa_user_sgpr_kernarg_preload_offset 0
		.amdhsa_user_sgpr_private_segment_size 0
		.amdhsa_uses_dynamic_stack 0
		.amdhsa_system_sgpr_private_segment_wavefront_offset 0
		.amdhsa_system_sgpr_workgroup_id_x 1
		.amdhsa_system_sgpr_workgroup_id_y 0
		.amdhsa_system_sgpr_workgroup_id_z 0
		.amdhsa_system_sgpr_workgroup_info 0
		.amdhsa_system_vgpr_workitem_id 0
		.amdhsa_next_free_vgpr 57
		.amdhsa_next_free_sgpr 7
		.amdhsa_accum_offset 60
		.amdhsa_reserve_vcc 1
		.amdhsa_reserve_flat_scratch 0
		.amdhsa_float_round_mode_32 0
		.amdhsa_float_round_mode_16_64 0
		.amdhsa_float_denorm_mode_32 3
		.amdhsa_float_denorm_mode_16_64 3
		.amdhsa_dx10_clamp 1
		.amdhsa_ieee_mode 1
		.amdhsa_fp16_overflow 0
		.amdhsa_tg_split 0
		.amdhsa_exception_fp_ieee_invalid_op 0
		.amdhsa_exception_fp_denorm_src 0
		.amdhsa_exception_fp_ieee_div_zero 0
		.amdhsa_exception_fp_ieee_overflow 0
		.amdhsa_exception_fp_ieee_underflow 0
		.amdhsa_exception_fp_ieee_inexact 0
		.amdhsa_exception_int_div_zero 0
	.end_amdhsa_kernel
	.section	.text._Z16warp_load_kernelILj256ELj16ELj32ELN6hipcub17WarpLoadAlgorithmE2EdEvPT3_S3_,"axG",@progbits,_Z16warp_load_kernelILj256ELj16ELj32ELN6hipcub17WarpLoadAlgorithmE2EdEvPT3_S3_,comdat
.Lfunc_end29:
	.size	_Z16warp_load_kernelILj256ELj16ELj32ELN6hipcub17WarpLoadAlgorithmE2EdEvPT3_S3_, .Lfunc_end29-_Z16warp_load_kernelILj256ELj16ELj32ELN6hipcub17WarpLoadAlgorithmE2EdEvPT3_S3_
                                        ; -- End function
	.section	.AMDGPU.csdata,"",@progbits
; Kernel info:
; codeLenInByte = 760
; NumSgprs: 11
; NumVgprs: 57
; NumAgprs: 0
; TotalNumVgprs: 57
; ScratchSize: 0
; MemoryBound: 1
; FloatMode: 240
; IeeeMode: 1
; LDSByteSize: 0 bytes/workgroup (compile time only)
; SGPRBlocks: 1
; VGPRBlocks: 7
; NumSGPRsForWavesPerEU: 11
; NumVGPRsForWavesPerEU: 57
; AccumOffset: 60
; Occupancy: 8
; WaveLimiterHint : 1
; COMPUTE_PGM_RSRC2:SCRATCH_EN: 0
; COMPUTE_PGM_RSRC2:USER_SGPR: 6
; COMPUTE_PGM_RSRC2:TRAP_HANDLER: 0
; COMPUTE_PGM_RSRC2:TGID_X_EN: 1
; COMPUTE_PGM_RSRC2:TGID_Y_EN: 0
; COMPUTE_PGM_RSRC2:TGID_Z_EN: 0
; COMPUTE_PGM_RSRC2:TIDIG_COMP_CNT: 0
; COMPUTE_PGM_RSRC3_GFX90A:ACCUM_OFFSET: 14
; COMPUTE_PGM_RSRC3_GFX90A:TG_SPLIT: 0
	.section	.text._Z16warp_load_kernelILj256ELj16ELj32ELN6hipcub17WarpLoadAlgorithmE3EdEvPT3_S3_,"axG",@progbits,_Z16warp_load_kernelILj256ELj16ELj32ELN6hipcub17WarpLoadAlgorithmE3EdEvPT3_S3_,comdat
	.protected	_Z16warp_load_kernelILj256ELj16ELj32ELN6hipcub17WarpLoadAlgorithmE3EdEvPT3_S3_ ; -- Begin function _Z16warp_load_kernelILj256ELj16ELj32ELN6hipcub17WarpLoadAlgorithmE3EdEvPT3_S3_
	.globl	_Z16warp_load_kernelILj256ELj16ELj32ELN6hipcub17WarpLoadAlgorithmE3EdEvPT3_S3_
	.p2align	8
	.type	_Z16warp_load_kernelILj256ELj16ELj32ELN6hipcub17WarpLoadAlgorithmE3EdEvPT3_S3_,@function
_Z16warp_load_kernelILj256ELj16ELj32ELN6hipcub17WarpLoadAlgorithmE3EdEvPT3_S3_: ; @_Z16warp_load_kernelILj256ELj16ELj32ELN6hipcub17WarpLoadAlgorithmE3EdEvPT3_S3_
; %bb.0:
	s_load_dwordx4 s[0:3], s[4:5], 0x0
	v_lshrrev_b32_e32 v36, 5, v0
	s_lshl_b32 s4, s6, 12
	v_mbcnt_lo_u32_b32 v1, -1, 0
	v_lshl_or_b32 v2, v36, 9, s4
	v_mov_b32_e32 v3, 0
	v_mbcnt_hi_u32_b32 v1, -1, v1
	v_lshlrev_b64 v[4:5], 3, v[2:3]
	v_and_b32_e32 v42, 31, v1
	s_waitcnt lgkmcnt(0)
	v_mov_b32_e32 v1, s1
	v_add_co_u32_e32 v2, vcc, s0, v4
	v_addc_co_u32_e32 v1, vcc, v1, v5, vcc
	v_lshlrev_b32_e32 v38, 3, v42
	v_add_co_u32_e32 v4, vcc, v2, v38
	v_addc_co_u32_e32 v5, vcc, 0, v1, vcc
	global_load_dwordx2 v[6:7], v[4:5], off
	global_load_dwordx2 v[8:9], v[4:5], off offset:256
	global_load_dwordx2 v[10:11], v[4:5], off offset:512
	;; [unrolled: 1-line block ×14, first 2 shown]
	s_nop 0
	global_load_dwordx2 v[4:5], v[4:5], off offset:3840
	v_or_b32_e32 v2, s4, v0
	v_lshlrev_b64 v[40:41], 3, v[2:3]
	v_mov_b32_e32 v1, v3
	v_or_b32_e32 v0, 0x200, v2
	v_mov_b32_e32 v45, s3
	v_add_co_u32_e32 v40, vcc, s2, v40
	v_lshlrev_b64 v[0:1], 3, v[0:1]
	v_addc_co_u32_e32 v41, vcc, v45, v41, vcc
	v_mov_b32_e32 v37, v3
	v_lshl_or_b32 v43, v36, 12, v38
	v_or_b32_e32 v36, 0x300, v2
	v_mov_b32_e32 v46, s3
	v_add_co_u32_e32 v0, vcc, s2, v0
	v_lshlrev_b64 v[36:37], 3, v[36:37]
	v_addc_co_u32_e32 v1, vcc, v46, v1, vcc
	v_mov_b32_e32 v39, v3
	v_or_b32_e32 v38, 0x400, v2
	v_mov_b32_e32 v47, s3
	v_add_co_u32_e32 v36, vcc, s2, v36
	s_movk_i32 s0, 0x78
	v_lshlrev_b64 v[38:39], 3, v[38:39]
	v_addc_co_u32_e32 v37, vcc, v47, v37, vcc
	v_mad_u32_u24 v42, v42, s0, v43
	v_mov_b32_e32 v48, s3
	v_add_co_u32_e32 v38, vcc, s2, v38
	v_add_u32_e32 v44, 0x800, v43
	v_addc_co_u32_e32 v39, vcc, v48, v39, vcc
	s_waitcnt vmcnt(14)
	ds_write2_b64 v43, v[6:7], v[8:9] offset1:32
	s_waitcnt vmcnt(12)
	ds_write2_b64 v43, v[10:11], v[12:13] offset0:64 offset1:96
	s_waitcnt vmcnt(10)
	ds_write2_b64 v43, v[14:15], v[16:17] offset0:128 offset1:160
	s_waitcnt vmcnt(8)
	ds_write2_b64 v43, v[18:19], v[20:21] offset0:192 offset1:224
	s_waitcnt vmcnt(6)
	ds_write2_b64 v44, v[22:23], v[24:25] offset1:32
	s_waitcnt vmcnt(4)
	ds_write2_b64 v44, v[26:27], v[28:29] offset0:64 offset1:96
	s_waitcnt vmcnt(2)
	ds_write2_b64 v44, v[30:31], v[32:33] offset0:128 offset1:160
	;; [unrolled: 2-line block ×3, first 2 shown]
	; wave barrier
	ds_read_b128 v[4:7], v42
	ds_read_b128 v[8:11], v42 offset:16
	ds_read_b128 v[12:15], v42 offset:32
	;; [unrolled: 1-line block ×7, first 2 shown]
	s_waitcnt lgkmcnt(7)
	global_store_dwordx2 v[40:41], v[4:5], off
	global_store_dwordx2 v[40:41], v[6:7], off offset:2048
	s_waitcnt lgkmcnt(6)
	global_store_dwordx2 v[0:1], v[8:9], off
	global_store_dwordx2 v[36:37], v[10:11], off
	s_waitcnt lgkmcnt(5)
	global_store_dwordx2 v[38:39], v[12:13], off
	v_or_b32_e32 v0, 0x500, v2
	v_mov_b32_e32 v1, v3
	v_lshlrev_b64 v[0:1], 3, v[0:1]
	v_mov_b32_e32 v4, s3
	v_add_co_u32_e32 v0, vcc, s2, v0
	v_addc_co_u32_e32 v1, vcc, v4, v1, vcc
	global_store_dwordx2 v[0:1], v[14:15], off
	v_or_b32_e32 v0, 0x600, v2
	v_mov_b32_e32 v1, v3
	v_lshlrev_b64 v[0:1], 3, v[0:1]
	v_add_co_u32_e32 v0, vcc, s2, v0
	v_addc_co_u32_e32 v1, vcc, v4, v1, vcc
	s_waitcnt lgkmcnt(4)
	global_store_dwordx2 v[0:1], v[16:17], off
	v_or_b32_e32 v0, 0x700, v2
	v_mov_b32_e32 v1, v3
	v_lshlrev_b64 v[0:1], 3, v[0:1]
	v_add_co_u32_e32 v0, vcc, s2, v0
	v_addc_co_u32_e32 v1, vcc, v4, v1, vcc
	global_store_dwordx2 v[0:1], v[18:19], off
	v_or_b32_e32 v0, 0x800, v2
	v_mov_b32_e32 v1, v3
	v_lshlrev_b64 v[0:1], 3, v[0:1]
	v_add_co_u32_e32 v0, vcc, s2, v0
	v_addc_co_u32_e32 v1, vcc, v4, v1, vcc
	s_waitcnt lgkmcnt(3)
	global_store_dwordx2 v[0:1], v[20:21], off
	v_or_b32_e32 v0, 0x900, v2
	v_mov_b32_e32 v1, v3
	v_lshlrev_b64 v[0:1], 3, v[0:1]
	;; [unrolled: 13-line block ×4, first 2 shown]
	v_add_co_u32_e32 v0, vcc, s2, v0
	v_addc_co_u32_e32 v1, vcc, v4, v1, vcc
	global_store_dwordx2 v[0:1], v[30:31], off
	v_or_b32_e32 v0, 0xe00, v2
	v_mov_b32_e32 v1, v3
	v_lshlrev_b64 v[0:1], 3, v[0:1]
	v_add_co_u32_e32 v0, vcc, s2, v0
	v_addc_co_u32_e32 v1, vcc, v4, v1, vcc
	v_or_b32_e32 v2, 0xf00, v2
	s_waitcnt lgkmcnt(0)
	global_store_dwordx2 v[0:1], v[32:33], off
	v_lshlrev_b64 v[0:1], 3, v[2:3]
	v_mov_b32_e32 v2, s3
	v_add_co_u32_e32 v0, vcc, s2, v0
	v_addc_co_u32_e32 v1, vcc, v2, v1, vcc
	global_store_dwordx2 v[0:1], v[34:35], off
	s_endpgm
	.section	.rodata,"a",@progbits
	.p2align	6, 0x0
	.amdhsa_kernel _Z16warp_load_kernelILj256ELj16ELj32ELN6hipcub17WarpLoadAlgorithmE3EdEvPT3_S3_
		.amdhsa_group_segment_fixed_size 32768
		.amdhsa_private_segment_fixed_size 0
		.amdhsa_kernarg_size 16
		.amdhsa_user_sgpr_count 6
		.amdhsa_user_sgpr_private_segment_buffer 1
		.amdhsa_user_sgpr_dispatch_ptr 0
		.amdhsa_user_sgpr_queue_ptr 0
		.amdhsa_user_sgpr_kernarg_segment_ptr 1
		.amdhsa_user_sgpr_dispatch_id 0
		.amdhsa_user_sgpr_flat_scratch_init 0
		.amdhsa_user_sgpr_kernarg_preload_length 0
		.amdhsa_user_sgpr_kernarg_preload_offset 0
		.amdhsa_user_sgpr_private_segment_size 0
		.amdhsa_uses_dynamic_stack 0
		.amdhsa_system_sgpr_private_segment_wavefront_offset 0
		.amdhsa_system_sgpr_workgroup_id_x 1
		.amdhsa_system_sgpr_workgroup_id_y 0
		.amdhsa_system_sgpr_workgroup_id_z 0
		.amdhsa_system_sgpr_workgroup_info 0
		.amdhsa_system_vgpr_workitem_id 0
		.amdhsa_next_free_vgpr 49
		.amdhsa_next_free_sgpr 7
		.amdhsa_accum_offset 52
		.amdhsa_reserve_vcc 1
		.amdhsa_reserve_flat_scratch 0
		.amdhsa_float_round_mode_32 0
		.amdhsa_float_round_mode_16_64 0
		.amdhsa_float_denorm_mode_32 3
		.amdhsa_float_denorm_mode_16_64 3
		.amdhsa_dx10_clamp 1
		.amdhsa_ieee_mode 1
		.amdhsa_fp16_overflow 0
		.amdhsa_tg_split 0
		.amdhsa_exception_fp_ieee_invalid_op 0
		.amdhsa_exception_fp_denorm_src 0
		.amdhsa_exception_fp_ieee_div_zero 0
		.amdhsa_exception_fp_ieee_overflow 0
		.amdhsa_exception_fp_ieee_underflow 0
		.amdhsa_exception_fp_ieee_inexact 0
		.amdhsa_exception_int_div_zero 0
	.end_amdhsa_kernel
	.section	.text._Z16warp_load_kernelILj256ELj16ELj32ELN6hipcub17WarpLoadAlgorithmE3EdEvPT3_S3_,"axG",@progbits,_Z16warp_load_kernelILj256ELj16ELj32ELN6hipcub17WarpLoadAlgorithmE3EdEvPT3_S3_,comdat
.Lfunc_end30:
	.size	_Z16warp_load_kernelILj256ELj16ELj32ELN6hipcub17WarpLoadAlgorithmE3EdEvPT3_S3_, .Lfunc_end30-_Z16warp_load_kernelILj256ELj16ELj32ELN6hipcub17WarpLoadAlgorithmE3EdEvPT3_S3_
                                        ; -- End function
	.section	.AMDGPU.csdata,"",@progbits
; Kernel info:
; codeLenInByte = 1000
; NumSgprs: 11
; NumVgprs: 49
; NumAgprs: 0
; TotalNumVgprs: 49
; ScratchSize: 0
; MemoryBound: 1
; FloatMode: 240
; IeeeMode: 1
; LDSByteSize: 32768 bytes/workgroup (compile time only)
; SGPRBlocks: 1
; VGPRBlocks: 6
; NumSGPRsForWavesPerEU: 11
; NumVGPRsForWavesPerEU: 49
; AccumOffset: 52
; Occupancy: 2
; WaveLimiterHint : 1
; COMPUTE_PGM_RSRC2:SCRATCH_EN: 0
; COMPUTE_PGM_RSRC2:USER_SGPR: 6
; COMPUTE_PGM_RSRC2:TRAP_HANDLER: 0
; COMPUTE_PGM_RSRC2:TGID_X_EN: 1
; COMPUTE_PGM_RSRC2:TGID_Y_EN: 0
; COMPUTE_PGM_RSRC2:TGID_Z_EN: 0
; COMPUTE_PGM_RSRC2:TIDIG_COMP_CNT: 0
; COMPUTE_PGM_RSRC3_GFX90A:ACCUM_OFFSET: 12
; COMPUTE_PGM_RSRC3_GFX90A:TG_SPLIT: 0
	.section	.text._Z16warp_load_kernelILj256ELj32ELj32ELN6hipcub17WarpLoadAlgorithmE0EdEvPT3_S3_,"axG",@progbits,_Z16warp_load_kernelILj256ELj32ELj32ELN6hipcub17WarpLoadAlgorithmE0EdEvPT3_S3_,comdat
	.protected	_Z16warp_load_kernelILj256ELj32ELj32ELN6hipcub17WarpLoadAlgorithmE0EdEvPT3_S3_ ; -- Begin function _Z16warp_load_kernelILj256ELj32ELj32ELN6hipcub17WarpLoadAlgorithmE0EdEvPT3_S3_
	.globl	_Z16warp_load_kernelILj256ELj32ELj32ELN6hipcub17WarpLoadAlgorithmE0EdEvPT3_S3_
	.p2align	8
	.type	_Z16warp_load_kernelILj256ELj32ELj32ELN6hipcub17WarpLoadAlgorithmE0EdEvPT3_S3_,@function
_Z16warp_load_kernelILj256ELj32ELj32ELN6hipcub17WarpLoadAlgorithmE0EdEvPT3_S3_: ; @_Z16warp_load_kernelILj256ELj32ELj32ELN6hipcub17WarpLoadAlgorithmE0EdEvPT3_S3_
; %bb.0:
	s_load_dwordx4 s[0:3], s[4:5], 0x0
	v_lshlrev_b32_e32 v2, 5, v0
	s_lshl_b32 s4, s6, 13
	v_and_b32_e32 v2, 0x1c00, v2
	v_mbcnt_lo_u32_b32 v1, -1, 0
	v_or_b32_e32 v2, s4, v2
	v_mov_b32_e32 v3, 0
	v_mbcnt_hi_u32_b32 v1, -1, v1
	v_lshlrev_b64 v[4:5], 3, v[2:3]
	s_waitcnt lgkmcnt(0)
	v_mov_b32_e32 v2, s1
	v_add_co_u32_e32 v4, vcc, s0, v4
	v_lshlrev_b32_e32 v1, 8, v1
	v_addc_co_u32_e32 v2, vcc, v2, v5, vcc
	v_and_b32_e32 v1, 0x1f00, v1
	v_add_co_u32_e32 v68, vcc, v4, v1
	v_addc_co_u32_e32 v69, vcc, 0, v2, vcc
	global_load_dwordx4 v[4:7], v[68:69], off
	global_load_dwordx4 v[8:11], v[68:69], off offset:16
	global_load_dwordx4 v[12:15], v[68:69], off offset:32
	;; [unrolled: 1-line block ×5, first 2 shown]
	v_or_b32_e32 v2, s4, v0
	v_lshlrev_b64 v[36:37], 3, v[2:3]
	v_mov_b32_e32 v1, v3
	v_or_b32_e32 v0, 0x200, v2
	v_mov_b32_e32 v42, s3
	v_add_co_u32_e32 v72, vcc, s2, v36
	v_lshlrev_b64 v[0:1], 3, v[0:1]
	v_addc_co_u32_e32 v73, vcc, v42, v37, vcc
	v_mov_b32_e32 v29, v3
	v_or_b32_e32 v28, 0x300, v2
	v_mov_b32_e32 v43, s3
	v_add_co_u32_e32 v0, vcc, s2, v0
	v_lshlrev_b64 v[28:29], 3, v[28:29]
	v_addc_co_u32_e32 v1, vcc, v43, v1, vcc
	v_mov_b32_e32 v31, v3
	v_mov_b32_e32 v33, v3
	;; [unrolled: 1-line block ×3, first 2 shown]
	v_or_b32_e32 v30, 0x400, v2
	v_or_b32_e32 v32, 0x500, v2
	;; [unrolled: 1-line block ×3, first 2 shown]
	v_mov_b32_e32 v44, s3
	v_add_co_u32_e32 v74, vcc, s2, v28
	v_lshlrev_b64 v[38:39], 3, v[30:31]
	v_lshlrev_b64 v[40:41], 3, v[32:33]
	;; [unrolled: 1-line block ×3, first 2 shown]
	v_addc_co_u32_e32 v75, vcc, v44, v29, vcc
	global_load_dwordx4 v[28:31], v[68:69], off offset:112
	global_load_dwordx4 v[32:35], v[68:69], off offset:96
	v_mov_b32_e32 v45, s3
	v_add_co_u32_e32 v76, vcc, s2, v38
	v_addc_co_u32_e32 v77, vcc, v45, v39, vcc
	v_mov_b32_e32 v46, s3
	v_add_co_u32_e32 v78, vcc, s2, v40
	v_addc_co_u32_e32 v79, vcc, v46, v41, vcc
	global_load_dwordx4 v[36:39], v[68:69], off offset:176
	global_load_dwordx4 v[40:43], v[68:69], off offset:160
	;; [unrolled: 1-line block ×8, first 2 shown]
	v_mov_b32_e32 v80, s3
	s_waitcnt vmcnt(15)
	global_store_dwordx2 v[72:73], v[4:5], off
	global_store_dwordx2 v[72:73], v[6:7], off offset:2048
	s_waitcnt vmcnt(16)
	global_store_dwordx2 v[0:1], v[8:9], off
	global_store_dwordx2 v[74:75], v[10:11], off
	s_waitcnt vmcnt(17)
	global_store_dwordx2 v[76:77], v[12:13], off
	global_store_dwordx2 v[78:79], v[14:15], off
	v_add_co_u32_e32 v0, vcc, s2, v70
	v_addc_co_u32_e32 v1, vcc, v80, v71, vcc
	s_waitcnt vmcnt(18)
	global_store_dwordx2 v[0:1], v[16:17], off
	v_or_b32_e32 v0, 0x700, v2
	v_mov_b32_e32 v1, v3
	v_lshlrev_b64 v[0:1], 3, v[0:1]
	v_mov_b32_e32 v4, s3
	v_add_co_u32_e32 v0, vcc, s2, v0
	v_addc_co_u32_e32 v1, vcc, v4, v1, vcc
	global_store_dwordx2 v[0:1], v[18:19], off
	v_or_b32_e32 v0, 0x800, v2
	v_mov_b32_e32 v1, v3
	v_lshlrev_b64 v[0:1], 3, v[0:1]
	v_add_co_u32_e32 v0, vcc, s2, v0
	v_addc_co_u32_e32 v1, vcc, v4, v1, vcc
	s_waitcnt vmcnt(18)
	global_store_dwordx2 v[0:1], v[24:25], off
	v_or_b32_e32 v0, 0x900, v2
	v_mov_b32_e32 v1, v3
	v_lshlrev_b64 v[0:1], 3, v[0:1]
	v_add_co_u32_e32 v0, vcc, s2, v0
	v_addc_co_u32_e32 v1, vcc, v4, v1, vcc
	global_store_dwordx2 v[0:1], v[26:27], off
	v_or_b32_e32 v0, 0xa00, v2
	v_mov_b32_e32 v1, v3
	v_lshlrev_b64 v[0:1], 3, v[0:1]
	v_add_co_u32_e32 v0, vcc, s2, v0
	v_addc_co_u32_e32 v1, vcc, v4, v1, vcc
	global_store_dwordx2 v[0:1], v[20:21], off
	v_or_b32_e32 v0, 0xb00, v2
	v_mov_b32_e32 v1, v3
	v_lshlrev_b64 v[0:1], 3, v[0:1]
	v_add_co_u32_e32 v0, vcc, s2, v0
	v_addc_co_u32_e32 v1, vcc, v4, v1, vcc
	global_store_dwordx2 v[0:1], v[22:23], off
	v_or_b32_e32 v0, 0xc00, v2
	v_mov_b32_e32 v1, v3
	v_lshlrev_b64 v[0:1], 3, v[0:1]
	v_add_co_u32_e32 v0, vcc, s2, v0
	v_addc_co_u32_e32 v1, vcc, v4, v1, vcc
	s_waitcnt vmcnt(20)
	global_store_dwordx2 v[0:1], v[32:33], off
	v_or_b32_e32 v0, 0xd00, v2
	v_mov_b32_e32 v1, v3
	v_lshlrev_b64 v[0:1], 3, v[0:1]
	v_add_co_u32_e32 v0, vcc, s2, v0
	v_addc_co_u32_e32 v1, vcc, v4, v1, vcc
	global_store_dwordx2 v[0:1], v[34:35], off
	v_or_b32_e32 v0, 0xe00, v2
	v_mov_b32_e32 v1, v3
	v_lshlrev_b64 v[0:1], 3, v[0:1]
	v_add_co_u32_e32 v0, vcc, s2, v0
	v_addc_co_u32_e32 v1, vcc, v4, v1, vcc
	global_store_dwordx2 v[0:1], v[28:29], off
	v_or_b32_e32 v0, 0xf00, v2
	v_mov_b32_e32 v1, v3
	v_lshlrev_b64 v[0:1], 3, v[0:1]
	;; [unrolled: 25-line block ×3, first 2 shown]
	v_add_co_u32_e32 v0, vcc, s2, v0
	v_addc_co_u32_e32 v1, vcc, v4, v1, vcc
	global_store_dwordx2 v[0:1], v[46:47], off
	v_or_b32_e32 v0, 0x1400, v2
	v_mov_b32_e32 v1, v3
	v_lshlrev_b64 v[0:1], 3, v[0:1]
	v_add_co_u32_e32 v0, vcc, s2, v0
	v_addc_co_u32_e32 v1, vcc, v4, v1, vcc
	global_store_dwordx2 v[0:1], v[40:41], off
	v_or_b32_e32 v0, 0x1500, v2
	v_mov_b32_e32 v1, v3
	v_lshlrev_b64 v[0:1], 3, v[0:1]
	;; [unrolled: 6-line block ×5, first 2 shown]
	v_add_co_u32_e32 v0, vcc, s2, v0
	v_addc_co_u32_e32 v1, vcc, v4, v1, vcc
	s_waitcnt vmcnt(24)
	global_store_dwordx2 v[0:1], v[64:65], off
	v_or_b32_e32 v0, 0x1900, v2
	v_mov_b32_e32 v1, v3
	v_lshlrev_b64 v[0:1], 3, v[0:1]
	v_add_co_u32_e32 v0, vcc, s2, v0
	v_addc_co_u32_e32 v1, vcc, v4, v1, vcc
	global_store_dwordx2 v[0:1], v[66:67], off
	v_or_b32_e32 v0, 0x1a00, v2
	v_mov_b32_e32 v1, v3
	v_lshlrev_b64 v[0:1], 3, v[0:1]
	v_add_co_u32_e32 v0, vcc, s2, v0
	v_addc_co_u32_e32 v1, vcc, v4, v1, vcc
	;; [unrolled: 6-line block ×6, first 2 shown]
	v_or_b32_e32 v2, 0x1f00, v2
	global_store_dwordx2 v[0:1], v[52:53], off
	v_lshlrev_b64 v[0:1], 3, v[2:3]
	v_mov_b32_e32 v2, s3
	v_add_co_u32_e32 v0, vcc, s2, v0
	v_addc_co_u32_e32 v1, vcc, v2, v1, vcc
	global_store_dwordx2 v[0:1], v[54:55], off
	s_endpgm
	.section	.rodata,"a",@progbits
	.p2align	6, 0x0
	.amdhsa_kernel _Z16warp_load_kernelILj256ELj32ELj32ELN6hipcub17WarpLoadAlgorithmE0EdEvPT3_S3_
		.amdhsa_group_segment_fixed_size 0
		.amdhsa_private_segment_fixed_size 0
		.amdhsa_kernarg_size 16
		.amdhsa_user_sgpr_count 6
		.amdhsa_user_sgpr_private_segment_buffer 1
		.amdhsa_user_sgpr_dispatch_ptr 0
		.amdhsa_user_sgpr_queue_ptr 0
		.amdhsa_user_sgpr_kernarg_segment_ptr 1
		.amdhsa_user_sgpr_dispatch_id 0
		.amdhsa_user_sgpr_flat_scratch_init 0
		.amdhsa_user_sgpr_kernarg_preload_length 0
		.amdhsa_user_sgpr_kernarg_preload_offset 0
		.amdhsa_user_sgpr_private_segment_size 0
		.amdhsa_uses_dynamic_stack 0
		.amdhsa_system_sgpr_private_segment_wavefront_offset 0
		.amdhsa_system_sgpr_workgroup_id_x 1
		.amdhsa_system_sgpr_workgroup_id_y 0
		.amdhsa_system_sgpr_workgroup_id_z 0
		.amdhsa_system_sgpr_workgroup_info 0
		.amdhsa_system_vgpr_workitem_id 0
		.amdhsa_next_free_vgpr 81
		.amdhsa_next_free_sgpr 7
		.amdhsa_accum_offset 84
		.amdhsa_reserve_vcc 1
		.amdhsa_reserve_flat_scratch 0
		.amdhsa_float_round_mode_32 0
		.amdhsa_float_round_mode_16_64 0
		.amdhsa_float_denorm_mode_32 3
		.amdhsa_float_denorm_mode_16_64 3
		.amdhsa_dx10_clamp 1
		.amdhsa_ieee_mode 1
		.amdhsa_fp16_overflow 0
		.amdhsa_tg_split 0
		.amdhsa_exception_fp_ieee_invalid_op 0
		.amdhsa_exception_fp_denorm_src 0
		.amdhsa_exception_fp_ieee_div_zero 0
		.amdhsa_exception_fp_ieee_overflow 0
		.amdhsa_exception_fp_ieee_underflow 0
		.amdhsa_exception_fp_ieee_inexact 0
		.amdhsa_exception_int_div_zero 0
	.end_amdhsa_kernel
	.section	.text._Z16warp_load_kernelILj256ELj32ELj32ELN6hipcub17WarpLoadAlgorithmE0EdEvPT3_S3_,"axG",@progbits,_Z16warp_load_kernelILj256ELj32ELj32ELN6hipcub17WarpLoadAlgorithmE0EdEvPT3_S3_,comdat
.Lfunc_end31:
	.size	_Z16warp_load_kernelILj256ELj32ELj32ELN6hipcub17WarpLoadAlgorithmE0EdEvPT3_S3_, .Lfunc_end31-_Z16warp_load_kernelILj256ELj32ELj32ELN6hipcub17WarpLoadAlgorithmE0EdEvPT3_S3_
                                        ; -- End function
	.section	.AMDGPU.csdata,"",@progbits
; Kernel info:
; codeLenInByte = 1400
; NumSgprs: 11
; NumVgprs: 81
; NumAgprs: 0
; TotalNumVgprs: 81
; ScratchSize: 0
; MemoryBound: 1
; FloatMode: 240
; IeeeMode: 1
; LDSByteSize: 0 bytes/workgroup (compile time only)
; SGPRBlocks: 1
; VGPRBlocks: 10
; NumSGPRsForWavesPerEU: 11
; NumVGPRsForWavesPerEU: 81
; AccumOffset: 84
; Occupancy: 5
; WaveLimiterHint : 1
; COMPUTE_PGM_RSRC2:SCRATCH_EN: 0
; COMPUTE_PGM_RSRC2:USER_SGPR: 6
; COMPUTE_PGM_RSRC2:TRAP_HANDLER: 0
; COMPUTE_PGM_RSRC2:TGID_X_EN: 1
; COMPUTE_PGM_RSRC2:TGID_Y_EN: 0
; COMPUTE_PGM_RSRC2:TGID_Z_EN: 0
; COMPUTE_PGM_RSRC2:TIDIG_COMP_CNT: 0
; COMPUTE_PGM_RSRC3_GFX90A:ACCUM_OFFSET: 20
; COMPUTE_PGM_RSRC3_GFX90A:TG_SPLIT: 0
	.section	.text._Z16warp_load_kernelILj256ELj32ELj32ELN6hipcub17WarpLoadAlgorithmE1EdEvPT3_S3_,"axG",@progbits,_Z16warp_load_kernelILj256ELj32ELj32ELN6hipcub17WarpLoadAlgorithmE1EdEvPT3_S3_,comdat
	.protected	_Z16warp_load_kernelILj256ELj32ELj32ELN6hipcub17WarpLoadAlgorithmE1EdEvPT3_S3_ ; -- Begin function _Z16warp_load_kernelILj256ELj32ELj32ELN6hipcub17WarpLoadAlgorithmE1EdEvPT3_S3_
	.globl	_Z16warp_load_kernelILj256ELj32ELj32ELN6hipcub17WarpLoadAlgorithmE1EdEvPT3_S3_
	.p2align	8
	.type	_Z16warp_load_kernelILj256ELj32ELj32ELN6hipcub17WarpLoadAlgorithmE1EdEvPT3_S3_,@function
_Z16warp_load_kernelILj256ELj32ELj32ELN6hipcub17WarpLoadAlgorithmE1EdEvPT3_S3_: ; @_Z16warp_load_kernelILj256ELj32ELj32ELN6hipcub17WarpLoadAlgorithmE1EdEvPT3_S3_
; %bb.0:
	s_load_dwordx4 s[0:3], s[4:5], 0x0
	v_lshlrev_b32_e32 v2, 5, v0
	s_lshl_b32 s4, s6, 13
	v_and_b32_e32 v2, 0x1c00, v2
	v_mbcnt_lo_u32_b32 v1, -1, 0
	v_or_b32_e32 v2, s4, v2
	v_mov_b32_e32 v3, 0
	v_mbcnt_hi_u32_b32 v1, -1, v1
	v_lshlrev_b64 v[4:5], 3, v[2:3]
	v_and_b32_e32 v1, 31, v1
	s_waitcnt lgkmcnt(0)
	v_mov_b32_e32 v2, s1
	v_add_co_u32_e32 v4, vcc, s0, v4
	v_addc_co_u32_e32 v2, vcc, v2, v5, vcc
	v_lshlrev_b32_e32 v1, 3, v1
	v_add_co_u32_e32 v4, vcc, v4, v1
	v_addc_co_u32_e32 v5, vcc, 0, v2, vcc
	global_load_dwordx2 v[18:19], v[4:5], off
	global_load_dwordx2 v[20:21], v[4:5], off offset:256
	global_load_dwordx2 v[22:23], v[4:5], off offset:512
	;; [unrolled: 1-line block ×15, first 2 shown]
	v_or_b32_e32 v2, s4, v0
	v_lshlrev_b64 v[6:7], 3, v[2:3]
	v_mov_b32_e32 v1, v3
	v_or_b32_e32 v0, 0x200, v2
	v_mov_b32_e32 v8, s3
	v_add_co_u32_e32 v32, vcc, s2, v6
	v_lshlrev_b64 v[0:1], 3, v[0:1]
	v_addc_co_u32_e32 v33, vcc, v8, v7, vcc
	v_mov_b32_e32 v9, s3
	v_add_co_u32_e32 v36, vcc, s2, v0
	s_movk_i32 s0, 0x1000
	v_addc_co_u32_e32 v37, vcc, v9, v1, vcc
	v_add_co_u32_e32 v0, vcc, s0, v4
	v_addc_co_u32_e32 v1, vcc, 0, v5, vcc
	global_load_dwordx2 v[54:55], v[0:1], off
	global_load_dwordx2 v[56:57], v[0:1], off offset:256
	global_load_dwordx2 v[58:59], v[0:1], off offset:512
	;; [unrolled: 1-line block ×14, first 2 shown]
	s_nop 0
	global_load_dwordx2 v[0:1], v[0:1], off offset:3840
	s_waitcnt vmcnt(31)
	global_store_dwordx2 v[32:33], v[18:19], off
	s_waitcnt vmcnt(31)
	global_store_dwordx2 v[32:33], v[20:21], off offset:2048
	v_mov_b32_e32 v19, v3
	v_or_b32_e32 v18, 0x300, v2
	v_lshlrev_b64 v[18:19], 3, v[18:19]
	v_mov_b32_e32 v20, s3
	v_add_co_u32_e32 v18, vcc, s2, v18
	v_addc_co_u32_e32 v19, vcc, v20, v19, vcc
	v_mov_b32_e32 v21, v3
	v_or_b32_e32 v20, 0x400, v2
	v_lshlrev_b64 v[20:21], 3, v[20:21]
	s_waitcnt vmcnt(31)
	global_store_dwordx2 v[36:37], v[22:23], off
	s_waitcnt vmcnt(31)
	global_store_dwordx2 v[18:19], v[24:25], off
	v_mov_b32_e32 v19, s3
	v_add_co_u32_e32 v18, vcc, s2, v20
	v_addc_co_u32_e32 v19, vcc, v19, v21, vcc
	s_waitcnt vmcnt(31)
	global_store_dwordx2 v[18:19], v[26:27], off
	v_or_b32_e32 v18, 0x500, v2
	v_mov_b32_e32 v19, v3
	v_lshlrev_b64 v[18:19], 3, v[18:19]
	v_mov_b32_e32 v20, s3
	v_add_co_u32_e32 v18, vcc, s2, v18
	v_addc_co_u32_e32 v19, vcc, v20, v19, vcc
	s_waitcnt vmcnt(31)
	global_store_dwordx2 v[18:19], v[28:29], off
	v_or_b32_e32 v18, 0x600, v2
	v_mov_b32_e32 v19, v3
	v_lshlrev_b64 v[18:19], 3, v[18:19]
	v_add_co_u32_e32 v18, vcc, s2, v18
	v_addc_co_u32_e32 v19, vcc, v20, v19, vcc
	s_waitcnt vmcnt(31)
	global_store_dwordx2 v[18:19], v[30:31], off
	v_or_b32_e32 v18, 0x700, v2
	v_mov_b32_e32 v19, v3
	v_lshlrev_b64 v[18:19], 3, v[18:19]
	;; [unrolled: 7-line block ×20, first 2 shown]
	v_mov_b32_e32 v18, s3
	v_add_co_u32_e32 v16, vcc, s2, v16
	v_addc_co_u32_e32 v17, vcc, v18, v17, vcc
	s_waitcnt vmcnt(31)
	global_store_dwordx2 v[16:17], v[14:15], off
	v_or_b32_e32 v14, 0x1a00, v2
	v_mov_b32_e32 v15, v3
	v_lshlrev_b64 v[14:15], 3, v[14:15]
	v_mov_b32_e32 v16, s3
	v_add_co_u32_e32 v14, vcc, s2, v14
	v_addc_co_u32_e32 v15, vcc, v16, v15, vcc
	s_waitcnt vmcnt(31)
	global_store_dwordx2 v[14:15], v[12:13], off
	v_or_b32_e32 v12, 0x1b00, v2
	v_mov_b32_e32 v13, v3
	v_lshlrev_b64 v[12:13], 3, v[12:13]
	;; [unrolled: 8-line block ×5, first 2 shown]
	v_mov_b32_e32 v8, s3
	v_add_co_u32_e32 v6, vcc, s2, v6
	v_or_b32_e32 v2, 0x1f00, v2
	v_addc_co_u32_e32 v7, vcc, v8, v7, vcc
	v_lshlrev_b64 v[2:3], 3, v[2:3]
	s_waitcnt vmcnt(31)
	global_store_dwordx2 v[6:7], v[4:5], off
	v_mov_b32_e32 v4, s3
	v_add_co_u32_e32 v2, vcc, s2, v2
	v_addc_co_u32_e32 v3, vcc, v4, v3, vcc
	s_waitcnt vmcnt(31)
	global_store_dwordx2 v[2:3], v[0:1], off
	s_endpgm
	.section	.rodata,"a",@progbits
	.p2align	6, 0x0
	.amdhsa_kernel _Z16warp_load_kernelILj256ELj32ELj32ELN6hipcub17WarpLoadAlgorithmE1EdEvPT3_S3_
		.amdhsa_group_segment_fixed_size 0
		.amdhsa_private_segment_fixed_size 0
		.amdhsa_kernarg_size 16
		.amdhsa_user_sgpr_count 6
		.amdhsa_user_sgpr_private_segment_buffer 1
		.amdhsa_user_sgpr_dispatch_ptr 0
		.amdhsa_user_sgpr_queue_ptr 0
		.amdhsa_user_sgpr_kernarg_segment_ptr 1
		.amdhsa_user_sgpr_dispatch_id 0
		.amdhsa_user_sgpr_flat_scratch_init 0
		.amdhsa_user_sgpr_kernarg_preload_length 0
		.amdhsa_user_sgpr_kernarg_preload_offset 0
		.amdhsa_user_sgpr_private_segment_size 0
		.amdhsa_uses_dynamic_stack 0
		.amdhsa_system_sgpr_private_segment_wavefront_offset 0
		.amdhsa_system_sgpr_workgroup_id_x 1
		.amdhsa_system_sgpr_workgroup_id_y 0
		.amdhsa_system_sgpr_workgroup_id_z 0
		.amdhsa_system_sgpr_workgroup_info 0
		.amdhsa_system_vgpr_workitem_id 0
		.amdhsa_next_free_vgpr 70
		.amdhsa_next_free_sgpr 7
		.amdhsa_accum_offset 72
		.amdhsa_reserve_vcc 1
		.amdhsa_reserve_flat_scratch 0
		.amdhsa_float_round_mode_32 0
		.amdhsa_float_round_mode_16_64 0
		.amdhsa_float_denorm_mode_32 3
		.amdhsa_float_denorm_mode_16_64 3
		.amdhsa_dx10_clamp 1
		.amdhsa_ieee_mode 1
		.amdhsa_fp16_overflow 0
		.amdhsa_tg_split 0
		.amdhsa_exception_fp_ieee_invalid_op 0
		.amdhsa_exception_fp_denorm_src 0
		.amdhsa_exception_fp_ieee_div_zero 0
		.amdhsa_exception_fp_ieee_overflow 0
		.amdhsa_exception_fp_ieee_underflow 0
		.amdhsa_exception_fp_ieee_inexact 0
		.amdhsa_exception_int_div_zero 0
	.end_amdhsa_kernel
	.section	.text._Z16warp_load_kernelILj256ELj32ELj32ELN6hipcub17WarpLoadAlgorithmE1EdEvPT3_S3_,"axG",@progbits,_Z16warp_load_kernelILj256ELj32ELj32ELN6hipcub17WarpLoadAlgorithmE1EdEvPT3_S3_,comdat
.Lfunc_end32:
	.size	_Z16warp_load_kernelILj256ELj32ELj32ELN6hipcub17WarpLoadAlgorithmE1EdEvPT3_S3_, .Lfunc_end32-_Z16warp_load_kernelILj256ELj32ELj32ELN6hipcub17WarpLoadAlgorithmE1EdEvPT3_S3_
                                        ; -- End function
	.section	.AMDGPU.csdata,"",@progbits
; Kernel info:
; codeLenInByte = 1652
; NumSgprs: 11
; NumVgprs: 70
; NumAgprs: 0
; TotalNumVgprs: 70
; ScratchSize: 0
; MemoryBound: 1
; FloatMode: 240
; IeeeMode: 1
; LDSByteSize: 0 bytes/workgroup (compile time only)
; SGPRBlocks: 1
; VGPRBlocks: 8
; NumSGPRsForWavesPerEU: 11
; NumVGPRsForWavesPerEU: 70
; AccumOffset: 72
; Occupancy: 7
; WaveLimiterHint : 1
; COMPUTE_PGM_RSRC2:SCRATCH_EN: 0
; COMPUTE_PGM_RSRC2:USER_SGPR: 6
; COMPUTE_PGM_RSRC2:TRAP_HANDLER: 0
; COMPUTE_PGM_RSRC2:TGID_X_EN: 1
; COMPUTE_PGM_RSRC2:TGID_Y_EN: 0
; COMPUTE_PGM_RSRC2:TGID_Z_EN: 0
; COMPUTE_PGM_RSRC2:TIDIG_COMP_CNT: 0
; COMPUTE_PGM_RSRC3_GFX90A:ACCUM_OFFSET: 17
; COMPUTE_PGM_RSRC3_GFX90A:TG_SPLIT: 0
	.section	.text._Z16warp_load_kernelILj256ELj32ELj32ELN6hipcub17WarpLoadAlgorithmE2EdEvPT3_S3_,"axG",@progbits,_Z16warp_load_kernelILj256ELj32ELj32ELN6hipcub17WarpLoadAlgorithmE2EdEvPT3_S3_,comdat
	.protected	_Z16warp_load_kernelILj256ELj32ELj32ELN6hipcub17WarpLoadAlgorithmE2EdEvPT3_S3_ ; -- Begin function _Z16warp_load_kernelILj256ELj32ELj32ELN6hipcub17WarpLoadAlgorithmE2EdEvPT3_S3_
	.globl	_Z16warp_load_kernelILj256ELj32ELj32ELN6hipcub17WarpLoadAlgorithmE2EdEvPT3_S3_
	.p2align	8
	.type	_Z16warp_load_kernelILj256ELj32ELj32ELN6hipcub17WarpLoadAlgorithmE2EdEvPT3_S3_,@function
_Z16warp_load_kernelILj256ELj32ELj32ELN6hipcub17WarpLoadAlgorithmE2EdEvPT3_S3_: ; @_Z16warp_load_kernelILj256ELj32ELj32ELN6hipcub17WarpLoadAlgorithmE2EdEvPT3_S3_
; %bb.0:
	s_load_dwordx4 s[0:3], s[4:5], 0x0
	v_lshlrev_b32_e32 v2, 5, v0
	s_lshl_b32 s4, s6, 13
	v_and_b32_e32 v2, 0x1c00, v2
	v_mbcnt_lo_u32_b32 v1, -1, 0
	v_or_b32_e32 v2, s4, v2
	v_mov_b32_e32 v3, 0
	v_mbcnt_hi_u32_b32 v1, -1, v1
	v_lshlrev_b64 v[4:5], 3, v[2:3]
	s_waitcnt lgkmcnt(0)
	v_mov_b32_e32 v2, s1
	v_add_co_u32_e32 v4, vcc, s0, v4
	v_lshlrev_b32_e32 v1, 8, v1
	v_addc_co_u32_e32 v2, vcc, v2, v5, vcc
	v_and_b32_e32 v1, 0x1f00, v1
	v_add_co_u32_e32 v68, vcc, v4, v1
	v_addc_co_u32_e32 v69, vcc, 0, v2, vcc
	global_load_dwordx4 v[4:7], v[68:69], off
	global_load_dwordx4 v[8:11], v[68:69], off offset:16
	global_load_dwordx4 v[12:15], v[68:69], off offset:32
	;; [unrolled: 1-line block ×5, first 2 shown]
	v_or_b32_e32 v2, s4, v0
	v_lshlrev_b64 v[36:37], 3, v[2:3]
	v_mov_b32_e32 v1, v3
	v_or_b32_e32 v0, 0x200, v2
	v_mov_b32_e32 v42, s3
	v_add_co_u32_e32 v72, vcc, s2, v36
	v_lshlrev_b64 v[0:1], 3, v[0:1]
	v_addc_co_u32_e32 v73, vcc, v42, v37, vcc
	v_mov_b32_e32 v29, v3
	v_or_b32_e32 v28, 0x300, v2
	v_mov_b32_e32 v43, s3
	v_add_co_u32_e32 v0, vcc, s2, v0
	v_lshlrev_b64 v[28:29], 3, v[28:29]
	v_addc_co_u32_e32 v1, vcc, v43, v1, vcc
	v_mov_b32_e32 v31, v3
	v_mov_b32_e32 v33, v3
	;; [unrolled: 1-line block ×3, first 2 shown]
	v_or_b32_e32 v30, 0x400, v2
	v_or_b32_e32 v32, 0x500, v2
	;; [unrolled: 1-line block ×3, first 2 shown]
	v_mov_b32_e32 v44, s3
	v_add_co_u32_e32 v74, vcc, s2, v28
	v_lshlrev_b64 v[38:39], 3, v[30:31]
	v_lshlrev_b64 v[40:41], 3, v[32:33]
	;; [unrolled: 1-line block ×3, first 2 shown]
	v_addc_co_u32_e32 v75, vcc, v44, v29, vcc
	global_load_dwordx4 v[28:31], v[68:69], off offset:112
	global_load_dwordx4 v[32:35], v[68:69], off offset:96
	v_mov_b32_e32 v45, s3
	v_add_co_u32_e32 v76, vcc, s2, v38
	v_addc_co_u32_e32 v77, vcc, v45, v39, vcc
	v_mov_b32_e32 v46, s3
	v_add_co_u32_e32 v78, vcc, s2, v40
	v_addc_co_u32_e32 v79, vcc, v46, v41, vcc
	global_load_dwordx4 v[36:39], v[68:69], off offset:176
	global_load_dwordx4 v[40:43], v[68:69], off offset:160
	global_load_dwordx4 v[44:47], v[68:69], off offset:144
	global_load_dwordx4 v[48:51], v[68:69], off offset:128
	global_load_dwordx4 v[52:55], v[68:69], off offset:240
	global_load_dwordx4 v[56:59], v[68:69], off offset:224
	global_load_dwordx4 v[60:63], v[68:69], off offset:208
	global_load_dwordx4 v[64:67], v[68:69], off offset:192
	v_mov_b32_e32 v80, s3
	s_waitcnt vmcnt(15)
	global_store_dwordx2 v[72:73], v[4:5], off
	global_store_dwordx2 v[72:73], v[6:7], off offset:2048
	s_waitcnt vmcnt(16)
	global_store_dwordx2 v[0:1], v[8:9], off
	global_store_dwordx2 v[74:75], v[10:11], off
	s_waitcnt vmcnt(17)
	global_store_dwordx2 v[76:77], v[12:13], off
	global_store_dwordx2 v[78:79], v[14:15], off
	v_add_co_u32_e32 v0, vcc, s2, v70
	v_addc_co_u32_e32 v1, vcc, v80, v71, vcc
	s_waitcnt vmcnt(18)
	global_store_dwordx2 v[0:1], v[16:17], off
	v_or_b32_e32 v0, 0x700, v2
	v_mov_b32_e32 v1, v3
	v_lshlrev_b64 v[0:1], 3, v[0:1]
	v_mov_b32_e32 v4, s3
	v_add_co_u32_e32 v0, vcc, s2, v0
	v_addc_co_u32_e32 v1, vcc, v4, v1, vcc
	global_store_dwordx2 v[0:1], v[18:19], off
	v_or_b32_e32 v0, 0x800, v2
	v_mov_b32_e32 v1, v3
	v_lshlrev_b64 v[0:1], 3, v[0:1]
	v_add_co_u32_e32 v0, vcc, s2, v0
	v_addc_co_u32_e32 v1, vcc, v4, v1, vcc
	s_waitcnt vmcnt(18)
	global_store_dwordx2 v[0:1], v[24:25], off
	v_or_b32_e32 v0, 0x900, v2
	v_mov_b32_e32 v1, v3
	v_lshlrev_b64 v[0:1], 3, v[0:1]
	v_add_co_u32_e32 v0, vcc, s2, v0
	v_addc_co_u32_e32 v1, vcc, v4, v1, vcc
	global_store_dwordx2 v[0:1], v[26:27], off
	v_or_b32_e32 v0, 0xa00, v2
	v_mov_b32_e32 v1, v3
	v_lshlrev_b64 v[0:1], 3, v[0:1]
	v_add_co_u32_e32 v0, vcc, s2, v0
	v_addc_co_u32_e32 v1, vcc, v4, v1, vcc
	global_store_dwordx2 v[0:1], v[20:21], off
	v_or_b32_e32 v0, 0xb00, v2
	v_mov_b32_e32 v1, v3
	v_lshlrev_b64 v[0:1], 3, v[0:1]
	v_add_co_u32_e32 v0, vcc, s2, v0
	v_addc_co_u32_e32 v1, vcc, v4, v1, vcc
	global_store_dwordx2 v[0:1], v[22:23], off
	v_or_b32_e32 v0, 0xc00, v2
	v_mov_b32_e32 v1, v3
	v_lshlrev_b64 v[0:1], 3, v[0:1]
	v_add_co_u32_e32 v0, vcc, s2, v0
	v_addc_co_u32_e32 v1, vcc, v4, v1, vcc
	s_waitcnt vmcnt(20)
	global_store_dwordx2 v[0:1], v[32:33], off
	v_or_b32_e32 v0, 0xd00, v2
	v_mov_b32_e32 v1, v3
	v_lshlrev_b64 v[0:1], 3, v[0:1]
	v_add_co_u32_e32 v0, vcc, s2, v0
	v_addc_co_u32_e32 v1, vcc, v4, v1, vcc
	global_store_dwordx2 v[0:1], v[34:35], off
	v_or_b32_e32 v0, 0xe00, v2
	v_mov_b32_e32 v1, v3
	v_lshlrev_b64 v[0:1], 3, v[0:1]
	v_add_co_u32_e32 v0, vcc, s2, v0
	v_addc_co_u32_e32 v1, vcc, v4, v1, vcc
	global_store_dwordx2 v[0:1], v[28:29], off
	v_or_b32_e32 v0, 0xf00, v2
	v_mov_b32_e32 v1, v3
	v_lshlrev_b64 v[0:1], 3, v[0:1]
	;; [unrolled: 25-line block ×3, first 2 shown]
	v_add_co_u32_e32 v0, vcc, s2, v0
	v_addc_co_u32_e32 v1, vcc, v4, v1, vcc
	global_store_dwordx2 v[0:1], v[46:47], off
	v_or_b32_e32 v0, 0x1400, v2
	v_mov_b32_e32 v1, v3
	v_lshlrev_b64 v[0:1], 3, v[0:1]
	v_add_co_u32_e32 v0, vcc, s2, v0
	v_addc_co_u32_e32 v1, vcc, v4, v1, vcc
	global_store_dwordx2 v[0:1], v[40:41], off
	v_or_b32_e32 v0, 0x1500, v2
	v_mov_b32_e32 v1, v3
	v_lshlrev_b64 v[0:1], 3, v[0:1]
	;; [unrolled: 6-line block ×5, first 2 shown]
	v_add_co_u32_e32 v0, vcc, s2, v0
	v_addc_co_u32_e32 v1, vcc, v4, v1, vcc
	s_waitcnt vmcnt(24)
	global_store_dwordx2 v[0:1], v[64:65], off
	v_or_b32_e32 v0, 0x1900, v2
	v_mov_b32_e32 v1, v3
	v_lshlrev_b64 v[0:1], 3, v[0:1]
	v_add_co_u32_e32 v0, vcc, s2, v0
	v_addc_co_u32_e32 v1, vcc, v4, v1, vcc
	global_store_dwordx2 v[0:1], v[66:67], off
	v_or_b32_e32 v0, 0x1a00, v2
	v_mov_b32_e32 v1, v3
	v_lshlrev_b64 v[0:1], 3, v[0:1]
	v_add_co_u32_e32 v0, vcc, s2, v0
	v_addc_co_u32_e32 v1, vcc, v4, v1, vcc
	global_store_dwordx2 v[0:1], v[60:61], off
	v_or_b32_e32 v0, 0x1b00, v2
	v_mov_b32_e32 v1, v3
	v_lshlrev_b64 v[0:1], 3, v[0:1]
	v_add_co_u32_e32 v0, vcc, s2, v0
	v_addc_co_u32_e32 v1, vcc, v4, v1, vcc
	global_store_dwordx2 v[0:1], v[62:63], off
	v_or_b32_e32 v0, 0x1c00, v2
	v_mov_b32_e32 v1, v3
	v_lshlrev_b64 v[0:1], 3, v[0:1]
	v_add_co_u32_e32 v0, vcc, s2, v0
	v_addc_co_u32_e32 v1, vcc, v4, v1, vcc
	global_store_dwordx2 v[0:1], v[56:57], off
	v_or_b32_e32 v0, 0x1d00, v2
	v_mov_b32_e32 v1, v3
	v_lshlrev_b64 v[0:1], 3, v[0:1]
	v_add_co_u32_e32 v0, vcc, s2, v0
	v_addc_co_u32_e32 v1, vcc, v4, v1, vcc
	global_store_dwordx2 v[0:1], v[58:59], off
	v_or_b32_e32 v0, 0x1e00, v2
	v_mov_b32_e32 v1, v3
	v_lshlrev_b64 v[0:1], 3, v[0:1]
	v_add_co_u32_e32 v0, vcc, s2, v0
	v_addc_co_u32_e32 v1, vcc, v4, v1, vcc
	v_or_b32_e32 v2, 0x1f00, v2
	global_store_dwordx2 v[0:1], v[52:53], off
	v_lshlrev_b64 v[0:1], 3, v[2:3]
	v_mov_b32_e32 v2, s3
	v_add_co_u32_e32 v0, vcc, s2, v0
	v_addc_co_u32_e32 v1, vcc, v2, v1, vcc
	global_store_dwordx2 v[0:1], v[54:55], off
	s_endpgm
	.section	.rodata,"a",@progbits
	.p2align	6, 0x0
	.amdhsa_kernel _Z16warp_load_kernelILj256ELj32ELj32ELN6hipcub17WarpLoadAlgorithmE2EdEvPT3_S3_
		.amdhsa_group_segment_fixed_size 0
		.amdhsa_private_segment_fixed_size 0
		.amdhsa_kernarg_size 16
		.amdhsa_user_sgpr_count 6
		.amdhsa_user_sgpr_private_segment_buffer 1
		.amdhsa_user_sgpr_dispatch_ptr 0
		.amdhsa_user_sgpr_queue_ptr 0
		.amdhsa_user_sgpr_kernarg_segment_ptr 1
		.amdhsa_user_sgpr_dispatch_id 0
		.amdhsa_user_sgpr_flat_scratch_init 0
		.amdhsa_user_sgpr_kernarg_preload_length 0
		.amdhsa_user_sgpr_kernarg_preload_offset 0
		.amdhsa_user_sgpr_private_segment_size 0
		.amdhsa_uses_dynamic_stack 0
		.amdhsa_system_sgpr_private_segment_wavefront_offset 0
		.amdhsa_system_sgpr_workgroup_id_x 1
		.amdhsa_system_sgpr_workgroup_id_y 0
		.amdhsa_system_sgpr_workgroup_id_z 0
		.amdhsa_system_sgpr_workgroup_info 0
		.amdhsa_system_vgpr_workitem_id 0
		.amdhsa_next_free_vgpr 81
		.amdhsa_next_free_sgpr 7
		.amdhsa_accum_offset 84
		.amdhsa_reserve_vcc 1
		.amdhsa_reserve_flat_scratch 0
		.amdhsa_float_round_mode_32 0
		.amdhsa_float_round_mode_16_64 0
		.amdhsa_float_denorm_mode_32 3
		.amdhsa_float_denorm_mode_16_64 3
		.amdhsa_dx10_clamp 1
		.amdhsa_ieee_mode 1
		.amdhsa_fp16_overflow 0
		.amdhsa_tg_split 0
		.amdhsa_exception_fp_ieee_invalid_op 0
		.amdhsa_exception_fp_denorm_src 0
		.amdhsa_exception_fp_ieee_div_zero 0
		.amdhsa_exception_fp_ieee_overflow 0
		.amdhsa_exception_fp_ieee_underflow 0
		.amdhsa_exception_fp_ieee_inexact 0
		.amdhsa_exception_int_div_zero 0
	.end_amdhsa_kernel
	.section	.text._Z16warp_load_kernelILj256ELj32ELj32ELN6hipcub17WarpLoadAlgorithmE2EdEvPT3_S3_,"axG",@progbits,_Z16warp_load_kernelILj256ELj32ELj32ELN6hipcub17WarpLoadAlgorithmE2EdEvPT3_S3_,comdat
.Lfunc_end33:
	.size	_Z16warp_load_kernelILj256ELj32ELj32ELN6hipcub17WarpLoadAlgorithmE2EdEvPT3_S3_, .Lfunc_end33-_Z16warp_load_kernelILj256ELj32ELj32ELN6hipcub17WarpLoadAlgorithmE2EdEvPT3_S3_
                                        ; -- End function
	.section	.AMDGPU.csdata,"",@progbits
; Kernel info:
; codeLenInByte = 1400
; NumSgprs: 11
; NumVgprs: 81
; NumAgprs: 0
; TotalNumVgprs: 81
; ScratchSize: 0
; MemoryBound: 1
; FloatMode: 240
; IeeeMode: 1
; LDSByteSize: 0 bytes/workgroup (compile time only)
; SGPRBlocks: 1
; VGPRBlocks: 10
; NumSGPRsForWavesPerEU: 11
; NumVGPRsForWavesPerEU: 81
; AccumOffset: 84
; Occupancy: 5
; WaveLimiterHint : 1
; COMPUTE_PGM_RSRC2:SCRATCH_EN: 0
; COMPUTE_PGM_RSRC2:USER_SGPR: 6
; COMPUTE_PGM_RSRC2:TRAP_HANDLER: 0
; COMPUTE_PGM_RSRC2:TGID_X_EN: 1
; COMPUTE_PGM_RSRC2:TGID_Y_EN: 0
; COMPUTE_PGM_RSRC2:TGID_Z_EN: 0
; COMPUTE_PGM_RSRC2:TIDIG_COMP_CNT: 0
; COMPUTE_PGM_RSRC3_GFX90A:ACCUM_OFFSET: 20
; COMPUTE_PGM_RSRC3_GFX90A:TG_SPLIT: 0
	.section	.text._Z16warp_load_kernelILj256ELj64ELj32ELN6hipcub17WarpLoadAlgorithmE0EdEvPT3_S3_,"axG",@progbits,_Z16warp_load_kernelILj256ELj64ELj32ELN6hipcub17WarpLoadAlgorithmE0EdEvPT3_S3_,comdat
	.protected	_Z16warp_load_kernelILj256ELj64ELj32ELN6hipcub17WarpLoadAlgorithmE0EdEvPT3_S3_ ; -- Begin function _Z16warp_load_kernelILj256ELj64ELj32ELN6hipcub17WarpLoadAlgorithmE0EdEvPT3_S3_
	.globl	_Z16warp_load_kernelILj256ELj64ELj32ELN6hipcub17WarpLoadAlgorithmE0EdEvPT3_S3_
	.p2align	8
	.type	_Z16warp_load_kernelILj256ELj64ELj32ELN6hipcub17WarpLoadAlgorithmE0EdEvPT3_S3_,@function
_Z16warp_load_kernelILj256ELj64ELj32ELN6hipcub17WarpLoadAlgorithmE0EdEvPT3_S3_: ; @_Z16warp_load_kernelILj256ELj64ELj32ELN6hipcub17WarpLoadAlgorithmE0EdEvPT3_S3_
; %bb.0:
	s_load_dwordx4 s[0:3], s[4:5], 0x0
	v_lshlrev_b32_e32 v2, 6, v0
	s_lshl_b32 s4, s6, 14
	v_and_b32_e32 v2, 0x3800, v2
	v_mbcnt_lo_u32_b32 v1, -1, 0
	v_or_b32_e32 v28, s4, v2
	v_mov_b32_e32 v29, 0
	v_mbcnt_hi_u32_b32 v1, -1, v1
	v_lshlrev_b64 v[2:3], 3, v[28:29]
	s_waitcnt lgkmcnt(0)
	v_mov_b32_e32 v4, s1
	v_add_co_u32_e32 v2, vcc, s0, v2
	v_lshlrev_b32_e32 v1, 9, v1
	v_addc_co_u32_e32 v3, vcc, v4, v3, vcc
	v_and_b32_e32 v1, 0x3e00, v1
	v_add_co_u32_e32 v12, vcc, v2, v1
	v_addc_co_u32_e32 v13, vcc, 0, v3, vcc
	global_load_dwordx4 v[30:33], v[12:13], off
	global_load_dwordx4 v[34:37], v[12:13], off offset:16
	global_load_dwordx4 v[38:41], v[12:13], off offset:32
	;; [unrolled: 1-line block ×5, first 2 shown]
	v_or_b32_e32 v28, s4, v0
	v_lshlrev_b64 v[6:7], 3, v[28:29]
	v_mov_b32_e32 v1, v29
	v_or_b32_e32 v0, 0x200, v28
	v_mov_b32_e32 v8, s3
	v_add_co_u32_e32 v130, vcc, s2, v6
	v_lshlrev_b64 v[0:1], 3, v[0:1]
	v_addc_co_u32_e32 v131, vcc, v8, v7, vcc
	v_mov_b32_e32 v3, v29
	v_or_b32_e32 v2, 0x300, v28
	v_mov_b32_e32 v9, s3
	v_add_co_u32_e32 v132, vcc, s2, v0
	v_lshlrev_b64 v[2:3], 3, v[2:3]
	v_addc_co_u32_e32 v133, vcc, v9, v1, vcc
	;; [unrolled: 6-line block ×3, first 2 shown]
	v_mov_b32_e32 v11, s3
	v_add_co_u32_e32 v136, vcc, s2, v4
	v_addc_co_u32_e32 v137, vcc, v11, v5, vcc
	global_load_dwordx4 v[54:57], v[12:13], off offset:112
	global_load_dwordx4 v[58:61], v[12:13], off offset:96
	;; [unrolled: 1-line block ×25, first 2 shown]
	s_nop 0
	global_load_dwordx4 v[12:15], v[12:13], off offset:448
	s_waitcnt vmcnt(31)
	global_store_dwordx2 v[130:131], v[30:31], off
	global_store_dwordx2 v[130:131], v[32:33], off offset:2048
	s_waitcnt vmcnt(32)
	global_store_dwordx2 v[132:133], v[34:35], off
	global_store_dwordx2 v[134:135], v[36:37], off
	s_waitcnt vmcnt(33)
	global_store_dwordx2 v[136:137], v[38:39], off
	v_or_b32_e32 v30, 0x500, v28
	v_mov_b32_e32 v31, v29
	v_lshlrev_b64 v[30:31], 3, v[30:31]
	v_mov_b32_e32 v32, s3
	v_add_co_u32_e32 v30, vcc, s2, v30
	v_addc_co_u32_e32 v31, vcc, v32, v31, vcc
	global_store_dwordx2 v[30:31], v[40:41], off
	v_or_b32_e32 v30, 0x600, v28
	v_mov_b32_e32 v31, v29
	v_lshlrev_b64 v[30:31], 3, v[30:31]
	v_add_co_u32_e32 v30, vcc, s2, v30
	v_addc_co_u32_e32 v31, vcc, v32, v31, vcc
	s_waitcnt vmcnt(34)
	global_store_dwordx2 v[30:31], v[42:43], off
	v_or_b32_e32 v30, 0x700, v28
	v_mov_b32_e32 v31, v29
	v_lshlrev_b64 v[30:31], 3, v[30:31]
	v_add_co_u32_e32 v30, vcc, s2, v30
	v_addc_co_u32_e32 v31, vcc, v32, v31, vcc
	global_store_dwordx2 v[30:31], v[44:45], off
	v_or_b32_e32 v30, 0x800, v28
	v_mov_b32_e32 v31, v29
	v_lshlrev_b64 v[30:31], 3, v[30:31]
	v_add_co_u32_e32 v30, vcc, s2, v30
	v_addc_co_u32_e32 v31, vcc, v32, v31, vcc
	s_waitcnt vmcnt(34)
	global_store_dwordx2 v[30:31], v[50:51], off
	v_or_b32_e32 v30, 0x900, v28
	v_mov_b32_e32 v31, v29
	v_lshlrev_b64 v[30:31], 3, v[30:31]
	v_add_co_u32_e32 v30, vcc, s2, v30
	v_addc_co_u32_e32 v31, vcc, v32, v31, vcc
	global_store_dwordx2 v[30:31], v[52:53], off
	v_or_b32_e32 v30, 0xa00, v28
	v_mov_b32_e32 v31, v29
	v_lshlrev_b64 v[30:31], 3, v[30:31]
	v_add_co_u32_e32 v30, vcc, s2, v30
	v_addc_co_u32_e32 v31, vcc, v32, v31, vcc
	global_store_dwordx2 v[30:31], v[46:47], off
	v_or_b32_e32 v30, 0xb00, v28
	v_mov_b32_e32 v31, v29
	v_lshlrev_b64 v[30:31], 3, v[30:31]
	v_add_co_u32_e32 v30, vcc, s2, v30
	v_addc_co_u32_e32 v31, vcc, v32, v31, vcc
	global_store_dwordx2 v[30:31], v[48:49], off
	v_or_b32_e32 v30, 0xc00, v28
	v_mov_b32_e32 v31, v29
	v_lshlrev_b64 v[30:31], 3, v[30:31]
	v_add_co_u32_e32 v30, vcc, s2, v30
	v_addc_co_u32_e32 v31, vcc, v32, v31, vcc
	s_waitcnt vmcnt(36)
	global_store_dwordx2 v[30:31], v[58:59], off
	v_or_b32_e32 v30, 0xd00, v28
	v_mov_b32_e32 v31, v29
	v_lshlrev_b64 v[30:31], 3, v[30:31]
	v_add_co_u32_e32 v30, vcc, s2, v30
	v_addc_co_u32_e32 v31, vcc, v32, v31, vcc
	global_store_dwordx2 v[30:31], v[60:61], off
	v_or_b32_e32 v30, 0xe00, v28
	v_mov_b32_e32 v31, v29
	v_lshlrev_b64 v[30:31], 3, v[30:31]
	v_add_co_u32_e32 v30, vcc, s2, v30
	v_addc_co_u32_e32 v31, vcc, v32, v31, vcc
	;; [unrolled: 25-line block ×3, first 2 shown]
	global_store_dwordx2 v[30:31], v[70:71], off
	v_or_b32_e32 v30, 0x1300, v28
	v_mov_b32_e32 v31, v29
	v_lshlrev_b64 v[30:31], 3, v[30:31]
	v_add_co_u32_e32 v30, vcc, s2, v30
	v_addc_co_u32_e32 v31, vcc, v32, v31, vcc
	global_store_dwordx2 v[30:31], v[72:73], off
	v_or_b32_e32 v30, 0x1400, v28
	v_mov_b32_e32 v31, v29
	v_lshlrev_b64 v[30:31], 3, v[30:31]
	v_add_co_u32_e32 v30, vcc, s2, v30
	v_addc_co_u32_e32 v31, vcc, v32, v31, vcc
	global_store_dwordx2 v[30:31], v[66:67], off
	v_or_b32_e32 v30, 0x1500, v28
	v_mov_b32_e32 v31, v29
	v_lshlrev_b64 v[30:31], 3, v[30:31]
	v_add_co_u32_e32 v30, vcc, s2, v30
	v_addc_co_u32_e32 v31, vcc, v32, v31, vcc
	global_store_dwordx2 v[30:31], v[68:69], off
	v_or_b32_e32 v30, 0x1600, v28
	v_mov_b32_e32 v31, v29
	v_lshlrev_b64 v[30:31], 3, v[30:31]
	v_add_co_u32_e32 v30, vcc, s2, v30
	v_addc_co_u32_e32 v31, vcc, v32, v31, vcc
	global_store_dwordx2 v[30:31], v[62:63], off
	v_or_b32_e32 v30, 0x1700, v28
	v_mov_b32_e32 v31, v29
	v_lshlrev_b64 v[30:31], 3, v[30:31]
	v_add_co_u32_e32 v30, vcc, s2, v30
	v_addc_co_u32_e32 v31, vcc, v32, v31, vcc
	global_store_dwordx2 v[30:31], v[64:65], off
	v_or_b32_e32 v30, 0x1800, v28
	v_mov_b32_e32 v31, v29
	v_lshlrev_b64 v[30:31], 3, v[30:31]
	v_add_co_u32_e32 v30, vcc, s2, v30
	v_addc_co_u32_e32 v31, vcc, v32, v31, vcc
	s_waitcnt vmcnt(40)
	global_store_dwordx2 v[30:31], v[90:91], off
	v_or_b32_e32 v30, 0x1900, v28
	v_mov_b32_e32 v31, v29
	v_lshlrev_b64 v[30:31], 3, v[30:31]
	v_add_co_u32_e32 v30, vcc, s2, v30
	v_addc_co_u32_e32 v31, vcc, v32, v31, vcc
	global_store_dwordx2 v[30:31], v[92:93], off
	v_or_b32_e32 v30, 0x1a00, v28
	v_mov_b32_e32 v31, v29
	v_lshlrev_b64 v[30:31], 3, v[30:31]
	v_add_co_u32_e32 v30, vcc, s2, v30
	v_addc_co_u32_e32 v31, vcc, v32, v31, vcc
	global_store_dwordx2 v[30:31], v[86:87], off
	v_or_b32_e32 v30, 0x1b00, v28
	v_mov_b32_e32 v31, v29
	v_lshlrev_b64 v[30:31], 3, v[30:31]
	v_add_co_u32_e32 v30, vcc, s2, v30
	v_addc_co_u32_e32 v31, vcc, v32, v31, vcc
	global_store_dwordx2 v[30:31], v[88:89], off
	v_or_b32_e32 v30, 0x1c00, v28
	v_mov_b32_e32 v31, v29
	v_lshlrev_b64 v[30:31], 3, v[30:31]
	v_add_co_u32_e32 v30, vcc, s2, v30
	v_addc_co_u32_e32 v31, vcc, v32, v31, vcc
	global_store_dwordx2 v[30:31], v[82:83], off
	v_or_b32_e32 v30, 0x1d00, v28
	v_mov_b32_e32 v31, v29
	v_lshlrev_b64 v[30:31], 3, v[30:31]
	v_add_co_u32_e32 v30, vcc, s2, v30
	v_addc_co_u32_e32 v31, vcc, v32, v31, vcc
	global_store_dwordx2 v[30:31], v[84:85], off
	v_or_b32_e32 v30, 0x1e00, v28
	v_mov_b32_e32 v31, v29
	v_lshlrev_b64 v[30:31], 3, v[30:31]
	v_add_co_u32_e32 v30, vcc, s2, v30
	v_addc_co_u32_e32 v31, vcc, v32, v31, vcc
	global_store_dwordx2 v[30:31], v[78:79], off
	v_or_b32_e32 v30, 0x1f00, v28
	v_mov_b32_e32 v31, v29
	v_lshlrev_b64 v[30:31], 3, v[30:31]
	v_add_co_u32_e32 v30, vcc, s2, v30
	v_addc_co_u32_e32 v31, vcc, v32, v31, vcc
	global_store_dwordx2 v[30:31], v[80:81], off
	v_or_b32_e32 v30, 0x2000, v28
	v_mov_b32_e32 v31, v29
	v_lshlrev_b64 v[30:31], 3, v[30:31]
	v_add_co_u32_e32 v30, vcc, s2, v30
	v_addc_co_u32_e32 v31, vcc, v32, v31, vcc
	s_waitcnt vmcnt(44)
	global_store_dwordx2 v[30:31], v[106:107], off
	v_or_b32_e32 v30, 0x2100, v28
	v_mov_b32_e32 v31, v29
	v_lshlrev_b64 v[30:31], 3, v[30:31]
	v_add_co_u32_e32 v30, vcc, s2, v30
	v_addc_co_u32_e32 v31, vcc, v32, v31, vcc
	global_store_dwordx2 v[30:31], v[108:109], off
	v_or_b32_e32 v30, 0x2200, v28
	v_mov_b32_e32 v31, v29
	v_lshlrev_b64 v[30:31], 3, v[30:31]
	v_add_co_u32_e32 v30, vcc, s2, v30
	v_addc_co_u32_e32 v31, vcc, v32, v31, vcc
	;; [unrolled: 49-line block ×4, first 2 shown]
	global_store_dwordx2 v[30:31], v[24:25], off
	v_or_b32_e32 v24, 0x3300, v28
	v_mov_b32_e32 v25, v29
	v_lshlrev_b64 v[24:25], 3, v[24:25]
	v_mov_b32_e32 v30, s3
	v_add_co_u32_e32 v24, vcc, s2, v24
	v_addc_co_u32_e32 v25, vcc, v30, v25, vcc
	global_store_dwordx2 v[24:25], v[26:27], off
	v_or_b32_e32 v24, 0x3400, v28
	v_mov_b32_e32 v25, v29
	v_lshlrev_b64 v[24:25], 3, v[24:25]
	v_mov_b32_e32 v26, s3
	v_add_co_u32_e32 v24, vcc, s2, v24
	v_addc_co_u32_e32 v25, vcc, v26, v25, vcc
	;; [unrolled: 7-line block ×6, first 2 shown]
	s_waitcnt vmcnt(56)
	global_store_dwordx2 v[16:17], v[12:13], off
	v_or_b32_e32 v12, 0x3900, v28
	v_mov_b32_e32 v13, v29
	v_lshlrev_b64 v[12:13], 3, v[12:13]
	v_mov_b32_e32 v16, s3
	v_add_co_u32_e32 v12, vcc, s2, v12
	v_addc_co_u32_e32 v13, vcc, v16, v13, vcc
	global_store_dwordx2 v[12:13], v[14:15], off
	v_or_b32_e32 v12, 0x3a00, v28
	v_mov_b32_e32 v13, v29
	v_lshlrev_b64 v[12:13], 3, v[12:13]
	v_mov_b32_e32 v14, s3
	v_add_co_u32_e32 v12, vcc, s2, v12
	v_addc_co_u32_e32 v13, vcc, v14, v13, vcc
	;; [unrolled: 7-line block ×6, first 2 shown]
	v_or_b32_e32 v28, 0x3f00, v28
	global_store_dwordx2 v[4:5], v[0:1], off
	v_lshlrev_b64 v[0:1], 3, v[28:29]
	v_mov_b32_e32 v4, s3
	v_add_co_u32_e32 v0, vcc, s2, v0
	v_addc_co_u32_e32 v1, vcc, v4, v1, vcc
	global_store_dwordx2 v[0:1], v[2:3], off
	s_endpgm
	.section	.rodata,"a",@progbits
	.p2align	6, 0x0
	.amdhsa_kernel _Z16warp_load_kernelILj256ELj64ELj32ELN6hipcub17WarpLoadAlgorithmE0EdEvPT3_S3_
		.amdhsa_group_segment_fixed_size 0
		.amdhsa_private_segment_fixed_size 0
		.amdhsa_kernarg_size 16
		.amdhsa_user_sgpr_count 6
		.amdhsa_user_sgpr_private_segment_buffer 1
		.amdhsa_user_sgpr_dispatch_ptr 0
		.amdhsa_user_sgpr_queue_ptr 0
		.amdhsa_user_sgpr_kernarg_segment_ptr 1
		.amdhsa_user_sgpr_dispatch_id 0
		.amdhsa_user_sgpr_flat_scratch_init 0
		.amdhsa_user_sgpr_kernarg_preload_length 0
		.amdhsa_user_sgpr_kernarg_preload_offset 0
		.amdhsa_user_sgpr_private_segment_size 0
		.amdhsa_uses_dynamic_stack 0
		.amdhsa_system_sgpr_private_segment_wavefront_offset 0
		.amdhsa_system_sgpr_workgroup_id_x 1
		.amdhsa_system_sgpr_workgroup_id_y 0
		.amdhsa_system_sgpr_workgroup_id_z 0
		.amdhsa_system_sgpr_workgroup_info 0
		.amdhsa_system_vgpr_workitem_id 0
		.amdhsa_next_free_vgpr 138
		.amdhsa_next_free_sgpr 7
		.amdhsa_accum_offset 140
		.amdhsa_reserve_vcc 1
		.amdhsa_reserve_flat_scratch 0
		.amdhsa_float_round_mode_32 0
		.amdhsa_float_round_mode_16_64 0
		.amdhsa_float_denorm_mode_32 3
		.amdhsa_float_denorm_mode_16_64 3
		.amdhsa_dx10_clamp 1
		.amdhsa_ieee_mode 1
		.amdhsa_fp16_overflow 0
		.amdhsa_tg_split 0
		.amdhsa_exception_fp_ieee_invalid_op 0
		.amdhsa_exception_fp_denorm_src 0
		.amdhsa_exception_fp_ieee_div_zero 0
		.amdhsa_exception_fp_ieee_overflow 0
		.amdhsa_exception_fp_ieee_underflow 0
		.amdhsa_exception_fp_ieee_inexact 0
		.amdhsa_exception_int_div_zero 0
	.end_amdhsa_kernel
	.section	.text._Z16warp_load_kernelILj256ELj64ELj32ELN6hipcub17WarpLoadAlgorithmE0EdEvPT3_S3_,"axG",@progbits,_Z16warp_load_kernelILj256ELj64ELj32ELN6hipcub17WarpLoadAlgorithmE0EdEvPT3_S3_,comdat
.Lfunc_end34:
	.size	_Z16warp_load_kernelILj256ELj64ELj32ELN6hipcub17WarpLoadAlgorithmE0EdEvPT3_S3_, .Lfunc_end34-_Z16warp_load_kernelILj256ELj64ELj32ELN6hipcub17WarpLoadAlgorithmE0EdEvPT3_S3_
                                        ; -- End function
	.section	.AMDGPU.csdata,"",@progbits
; Kernel info:
; codeLenInByte = 2740
; NumSgprs: 11
; NumVgprs: 138
; NumAgprs: 0
; TotalNumVgprs: 138
; ScratchSize: 0
; MemoryBound: 1
; FloatMode: 240
; IeeeMode: 1
; LDSByteSize: 0 bytes/workgroup (compile time only)
; SGPRBlocks: 1
; VGPRBlocks: 17
; NumSGPRsForWavesPerEU: 11
; NumVGPRsForWavesPerEU: 138
; AccumOffset: 140
; Occupancy: 3
; WaveLimiterHint : 1
; COMPUTE_PGM_RSRC2:SCRATCH_EN: 0
; COMPUTE_PGM_RSRC2:USER_SGPR: 6
; COMPUTE_PGM_RSRC2:TRAP_HANDLER: 0
; COMPUTE_PGM_RSRC2:TGID_X_EN: 1
; COMPUTE_PGM_RSRC2:TGID_Y_EN: 0
; COMPUTE_PGM_RSRC2:TGID_Z_EN: 0
; COMPUTE_PGM_RSRC2:TIDIG_COMP_CNT: 0
; COMPUTE_PGM_RSRC3_GFX90A:ACCUM_OFFSET: 34
; COMPUTE_PGM_RSRC3_GFX90A:TG_SPLIT: 0
	.section	.text._Z16warp_load_kernelILj256ELj64ELj32ELN6hipcub17WarpLoadAlgorithmE1EdEvPT3_S3_,"axG",@progbits,_Z16warp_load_kernelILj256ELj64ELj32ELN6hipcub17WarpLoadAlgorithmE1EdEvPT3_S3_,comdat
	.protected	_Z16warp_load_kernelILj256ELj64ELj32ELN6hipcub17WarpLoadAlgorithmE1EdEvPT3_S3_ ; -- Begin function _Z16warp_load_kernelILj256ELj64ELj32ELN6hipcub17WarpLoadAlgorithmE1EdEvPT3_S3_
	.globl	_Z16warp_load_kernelILj256ELj64ELj32ELN6hipcub17WarpLoadAlgorithmE1EdEvPT3_S3_
	.p2align	8
	.type	_Z16warp_load_kernelILj256ELj64ELj32ELN6hipcub17WarpLoadAlgorithmE1EdEvPT3_S3_,@function
_Z16warp_load_kernelILj256ELj64ELj32ELN6hipcub17WarpLoadAlgorithmE1EdEvPT3_S3_: ; @_Z16warp_load_kernelILj256ELj64ELj32ELN6hipcub17WarpLoadAlgorithmE1EdEvPT3_S3_
; %bb.0:
	s_load_dwordx4 s[0:3], s[4:5], 0x0
	v_lshlrev_b32_e32 v2, 6, v0
	s_lshl_b32 s4, s6, 14
	v_and_b32_e32 v2, 0x3800, v2
	v_mbcnt_lo_u32_b32 v1, -1, 0
	v_or_b32_e32 v2, s4, v2
	v_mov_b32_e32 v3, 0
	v_mbcnt_hi_u32_b32 v1, -1, v1
	v_lshlrev_b64 v[4:5], 3, v[2:3]
	v_and_b32_e32 v1, 31, v1
	s_waitcnt lgkmcnt(0)
	v_mov_b32_e32 v2, s1
	v_add_co_u32_e32 v4, vcc, s0, v4
	v_addc_co_u32_e32 v2, vcc, v2, v5, vcc
	v_lshlrev_b32_e32 v1, 3, v1
	v_add_co_u32_e32 v4, vcc, v4, v1
	v_addc_co_u32_e32 v5, vcc, 0, v2, vcc
	global_load_dwordx2 v[90:91], v[4:5], off
	global_load_dwordx2 v[92:93], v[4:5], off offset:256
	global_load_dwordx2 v[94:95], v[4:5], off offset:512
	;; [unrolled: 1-line block ×15, first 2 shown]
	s_movk_i32 s0, 0x1000
	v_add_co_u32_e32 v6, vcc, s0, v4
	v_addc_co_u32_e32 v7, vcc, 0, v5, vcc
	s_movk_i32 s0, 0x2000
	v_add_co_u32_e32 v118, vcc, s0, v4
	v_addc_co_u32_e32 v119, vcc, 0, v5, vcc
	s_movk_i32 s0, 0x3000
	v_add_co_u32_e32 v120, vcc, s0, v4
	v_or_b32_e32 v2, s4, v0
	v_addc_co_u32_e32 v121, vcc, 0, v5, vcc
	v_lshlrev_b64 v[0:1], 3, v[2:3]
	v_mov_b32_e32 v4, s3
	v_add_co_u32_e32 v122, vcc, s2, v0
	global_load_dwordx2 v[62:63], v[118:119], off
	global_load_dwordx2 v[58:59], v[118:119], off offset:256
	global_load_dwordx2 v[54:55], v[118:119], off offset:512
	;; [unrolled: 1-line block ×3, first 2 shown]
	v_addc_co_u32_e32 v123, vcc, v4, v1, vcc
	global_load_dwordx2 v[64:65], v[118:119], off offset:1024
	global_load_dwordx2 v[60:61], v[118:119], off offset:1280
	;; [unrolled: 1-line block ×27, first 2 shown]
	global_load_dwordx2 v[34:35], v[120:121], off
	global_load_dwordx2 v[30:31], v[120:121], off offset:256
	global_load_dwordx2 v[28:29], v[120:121], off offset:512
                                        ; kill: killed $vgpr6 killed $vgpr7
	global_load_dwordx2 v[26:27], v[120:121], off offset:768
	global_load_dwordx2 v[24:25], v[120:121], off offset:1024
	;; [unrolled: 1-line block ×12, first 2 shown]
	s_nop 0
	global_load_dwordx2 v[118:119], v[118:119], off offset:-4096
	s_nop 0
	global_load_dwordx2 v[0:1], v[120:121], off offset:3840
	s_waitcnt vmcnt(62)
	global_store_dwordx2 v[122:123], v[90:91], off
	global_store_dwordx2 v[122:123], v[92:93], off offset:2048
	v_or_b32_e32 v90, 0x200, v2
	v_mov_b32_e32 v91, v3
	v_lshlrev_b64 v[90:91], 3, v[90:91]
	v_mov_b32_e32 v92, s3
	v_add_co_u32_e32 v90, vcc, s2, v90
	v_addc_co_u32_e32 v91, vcc, v92, v91, vcc
	s_waitcnt vmcnt(62)
	global_store_dwordx2 v[90:91], v[94:95], off
	v_or_b32_e32 v90, 0x300, v2
	v_mov_b32_e32 v91, v3
	v_lshlrev_b64 v[90:91], 3, v[90:91]
	v_add_co_u32_e32 v90, vcc, s2, v90
	v_addc_co_u32_e32 v91, vcc, v92, v91, vcc
	global_store_dwordx2 v[90:91], v[96:97], off
	v_or_b32_e32 v90, 0x400, v2
	v_mov_b32_e32 v91, v3
	v_lshlrev_b64 v[90:91], 3, v[90:91]
	v_add_co_u32_e32 v90, vcc, s2, v90
	v_addc_co_u32_e32 v91, vcc, v92, v91, vcc
	s_waitcnt vmcnt(62)
	global_store_dwordx2 v[90:91], v[98:99], off
	v_or_b32_e32 v90, 0x500, v2
	v_mov_b32_e32 v91, v3
	v_lshlrev_b64 v[90:91], 3, v[90:91]
	v_add_co_u32_e32 v90, vcc, s2, v90
	v_addc_co_u32_e32 v91, vcc, v92, v91, vcc
	global_store_dwordx2 v[90:91], v[100:101], off
	v_or_b32_e32 v90, 0x600, v2
	v_mov_b32_e32 v91, v3
	v_lshlrev_b64 v[90:91], 3, v[90:91]
	;; [unrolled: 13-line block ×6, first 2 shown]
	v_add_co_u32_e32 v90, vcc, s2, v90
	v_addc_co_u32_e32 v91, vcc, v92, v91, vcc
	s_waitcnt vmcnt(62)
	global_store_dwordx2 v[90:91], v[86:87], off
	v_or_b32_e32 v86, 0xf00, v2
	v_mov_b32_e32 v87, v3
	v_lshlrev_b64 v[86:87], 3, v[86:87]
	v_mov_b32_e32 v90, s3
	v_add_co_u32_e32 v86, vcc, s2, v86
	v_addc_co_u32_e32 v87, vcc, v90, v87, vcc
	global_store_dwordx2 v[86:87], v[82:83], off
	v_or_b32_e32 v82, 0x1000, v2
	v_mov_b32_e32 v83, v3
	v_lshlrev_b64 v[82:83], 3, v[82:83]
	v_mov_b32_e32 v86, s3
	v_add_co_u32_e32 v82, vcc, s2, v82
	v_addc_co_u32_e32 v83, vcc, v86, v83, vcc
	s_waitcnt vmcnt(17)
	global_store_dwordx2 v[82:83], v[118:119], off
	v_or_b32_e32 v82, 0x1100, v2
	v_mov_b32_e32 v83, v3
	v_lshlrev_b64 v[82:83], 3, v[82:83]
	v_add_co_u32_e32 v82, vcc, s2, v82
	v_addc_co_u32_e32 v83, vcc, v86, v83, vcc
	global_store_dwordx2 v[82:83], v[124:125], off
	v_or_b32_e32 v82, 0x1200, v2
	v_mov_b32_e32 v83, v3
	v_lshlrev_b64 v[82:83], 3, v[82:83]
	v_add_co_u32_e32 v82, vcc, s2, v82
	v_addc_co_u32_e32 v83, vcc, v86, v83, vcc
	;; [unrolled: 6-line block ×7, first 2 shown]
	global_store_dwordx2 v[82:83], v[84:85], off
	v_or_b32_e32 v82, 0x1800, v2
	v_mov_b32_e32 v83, v3
	v_lshlrev_b64 v[82:83], 3, v[82:83]
	v_mov_b32_e32 v84, s3
	v_add_co_u32_e32 v82, vcc, s2, v82
	v_addc_co_u32_e32 v83, vcc, v84, v83, vcc
	global_store_dwordx2 v[82:83], v[80:81], off
	v_or_b32_e32 v80, 0x1900, v2
	v_mov_b32_e32 v81, v3
	v_lshlrev_b64 v[80:81], 3, v[80:81]
	v_mov_b32_e32 v82, s3
	v_add_co_u32_e32 v80, vcc, s2, v80
	v_addc_co_u32_e32 v81, vcc, v82, v81, vcc
	;; [unrolled: 7-line block ×13, first 2 shown]
	global_store_dwordx2 v[50:51], v[64:65], off
	v_or_b32_e32 v50, 0x2500, v2
	v_mov_b32_e32 v51, v3
	v_lshlrev_b64 v[50:51], 3, v[50:51]
	v_add_co_u32_e32 v50, vcc, s2, v50
	v_addc_co_u32_e32 v51, vcc, v54, v51, vcc
	global_store_dwordx2 v[50:51], v[60:61], off
	v_or_b32_e32 v50, 0x2600, v2
	v_mov_b32_e32 v51, v3
	v_lshlrev_b64 v[50:51], 3, v[50:51]
	v_add_co_u32_e32 v50, vcc, s2, v50
	v_addc_co_u32_e32 v51, vcc, v54, v51, vcc
	;; [unrolled: 6-line block ×3, first 2 shown]
	global_store_dwordx2 v[50:51], v[52:53], off
	v_or_b32_e32 v50, 0x2800, v2
	v_mov_b32_e32 v51, v3
	v_lshlrev_b64 v[50:51], 3, v[50:51]
	v_mov_b32_e32 v52, s3
	v_add_co_u32_e32 v50, vcc, s2, v50
	v_addc_co_u32_e32 v51, vcc, v52, v51, vcc
	global_store_dwordx2 v[50:51], v[48:49], off
	v_or_b32_e32 v48, 0x2900, v2
	v_mov_b32_e32 v49, v3
	v_lshlrev_b64 v[48:49], 3, v[48:49]
	v_mov_b32_e32 v50, s3
	v_add_co_u32_e32 v48, vcc, s2, v48
	v_addc_co_u32_e32 v49, vcc, v50, v49, vcc
	;; [unrolled: 7-line block ×22, first 2 shown]
	global_store_dwordx2 v[8:9], v[6:7], off
	v_or_b32_e32 v6, 0x3e00, v2
	v_mov_b32_e32 v7, v3
	v_lshlrev_b64 v[6:7], 3, v[6:7]
	v_mov_b32_e32 v8, s3
	v_add_co_u32_e32 v6, vcc, s2, v6
	v_or_b32_e32 v2, 0x3f00, v2
	v_addc_co_u32_e32 v7, vcc, v8, v7, vcc
	v_lshlrev_b64 v[2:3], 3, v[2:3]
	global_store_dwordx2 v[6:7], v[4:5], off
	v_mov_b32_e32 v4, s3
	v_add_co_u32_e32 v2, vcc, s2, v2
	v_addc_co_u32_e32 v3, vcc, v4, v3, vcc
	s_waitcnt vmcnt(62)
	global_store_dwordx2 v[2:3], v[0:1], off
	s_endpgm
	.section	.rodata,"a",@progbits
	.p2align	6, 0x0
	.amdhsa_kernel _Z16warp_load_kernelILj256ELj64ELj32ELN6hipcub17WarpLoadAlgorithmE1EdEvPT3_S3_
		.amdhsa_group_segment_fixed_size 0
		.amdhsa_private_segment_fixed_size 0
		.amdhsa_kernarg_size 16
		.amdhsa_user_sgpr_count 6
		.amdhsa_user_sgpr_private_segment_buffer 1
		.amdhsa_user_sgpr_dispatch_ptr 0
		.amdhsa_user_sgpr_queue_ptr 0
		.amdhsa_user_sgpr_kernarg_segment_ptr 1
		.amdhsa_user_sgpr_dispatch_id 0
		.amdhsa_user_sgpr_flat_scratch_init 0
		.amdhsa_user_sgpr_kernarg_preload_length 0
		.amdhsa_user_sgpr_kernarg_preload_offset 0
		.amdhsa_user_sgpr_private_segment_size 0
		.amdhsa_uses_dynamic_stack 0
		.amdhsa_system_sgpr_private_segment_wavefront_offset 0
		.amdhsa_system_sgpr_workgroup_id_x 1
		.amdhsa_system_sgpr_workgroup_id_y 0
		.amdhsa_system_sgpr_workgroup_id_z 0
		.amdhsa_system_sgpr_workgroup_info 0
		.amdhsa_system_vgpr_workitem_id 0
		.amdhsa_next_free_vgpr 134
		.amdhsa_next_free_sgpr 7
		.amdhsa_accum_offset 136
		.amdhsa_reserve_vcc 1
		.amdhsa_reserve_flat_scratch 0
		.amdhsa_float_round_mode_32 0
		.amdhsa_float_round_mode_16_64 0
		.amdhsa_float_denorm_mode_32 3
		.amdhsa_float_denorm_mode_16_64 3
		.amdhsa_dx10_clamp 1
		.amdhsa_ieee_mode 1
		.amdhsa_fp16_overflow 0
		.amdhsa_tg_split 0
		.amdhsa_exception_fp_ieee_invalid_op 0
		.amdhsa_exception_fp_denorm_src 0
		.amdhsa_exception_fp_ieee_div_zero 0
		.amdhsa_exception_fp_ieee_overflow 0
		.amdhsa_exception_fp_ieee_underflow 0
		.amdhsa_exception_fp_ieee_inexact 0
		.amdhsa_exception_int_div_zero 0
	.end_amdhsa_kernel
	.section	.text._Z16warp_load_kernelILj256ELj64ELj32ELN6hipcub17WarpLoadAlgorithmE1EdEvPT3_S3_,"axG",@progbits,_Z16warp_load_kernelILj256ELj64ELj32ELN6hipcub17WarpLoadAlgorithmE1EdEvPT3_S3_,comdat
.Lfunc_end35:
	.size	_Z16warp_load_kernelILj256ELj64ELj32ELN6hipcub17WarpLoadAlgorithmE1EdEvPT3_S3_, .Lfunc_end35-_Z16warp_load_kernelILj256ELj64ELj32ELN6hipcub17WarpLoadAlgorithmE1EdEvPT3_S3_
                                        ; -- End function
	.section	.AMDGPU.csdata,"",@progbits
; Kernel info:
; codeLenInByte = 3116
; NumSgprs: 11
; NumVgprs: 134
; NumAgprs: 0
; TotalNumVgprs: 134
; ScratchSize: 0
; MemoryBound: 1
; FloatMode: 240
; IeeeMode: 1
; LDSByteSize: 0 bytes/workgroup (compile time only)
; SGPRBlocks: 1
; VGPRBlocks: 16
; NumSGPRsForWavesPerEU: 11
; NumVGPRsForWavesPerEU: 134
; AccumOffset: 136
; Occupancy: 3
; WaveLimiterHint : 1
; COMPUTE_PGM_RSRC2:SCRATCH_EN: 0
; COMPUTE_PGM_RSRC2:USER_SGPR: 6
; COMPUTE_PGM_RSRC2:TRAP_HANDLER: 0
; COMPUTE_PGM_RSRC2:TGID_X_EN: 1
; COMPUTE_PGM_RSRC2:TGID_Y_EN: 0
; COMPUTE_PGM_RSRC2:TGID_Z_EN: 0
; COMPUTE_PGM_RSRC2:TIDIG_COMP_CNT: 0
; COMPUTE_PGM_RSRC3_GFX90A:ACCUM_OFFSET: 33
; COMPUTE_PGM_RSRC3_GFX90A:TG_SPLIT: 0
	.section	.text._Z16warp_load_kernelILj256ELj64ELj32ELN6hipcub17WarpLoadAlgorithmE2EdEvPT3_S3_,"axG",@progbits,_Z16warp_load_kernelILj256ELj64ELj32ELN6hipcub17WarpLoadAlgorithmE2EdEvPT3_S3_,comdat
	.protected	_Z16warp_load_kernelILj256ELj64ELj32ELN6hipcub17WarpLoadAlgorithmE2EdEvPT3_S3_ ; -- Begin function _Z16warp_load_kernelILj256ELj64ELj32ELN6hipcub17WarpLoadAlgorithmE2EdEvPT3_S3_
	.globl	_Z16warp_load_kernelILj256ELj64ELj32ELN6hipcub17WarpLoadAlgorithmE2EdEvPT3_S3_
	.p2align	8
	.type	_Z16warp_load_kernelILj256ELj64ELj32ELN6hipcub17WarpLoadAlgorithmE2EdEvPT3_S3_,@function
_Z16warp_load_kernelILj256ELj64ELj32ELN6hipcub17WarpLoadAlgorithmE2EdEvPT3_S3_: ; @_Z16warp_load_kernelILj256ELj64ELj32ELN6hipcub17WarpLoadAlgorithmE2EdEvPT3_S3_
; %bb.0:
	s_load_dwordx4 s[0:3], s[4:5], 0x0
	v_lshlrev_b32_e32 v2, 6, v0
	s_lshl_b32 s4, s6, 14
	v_and_b32_e32 v2, 0x3800, v2
	v_mbcnt_lo_u32_b32 v1, -1, 0
	v_or_b32_e32 v28, s4, v2
	v_mov_b32_e32 v29, 0
	v_mbcnt_hi_u32_b32 v1, -1, v1
	v_lshlrev_b64 v[2:3], 3, v[28:29]
	s_waitcnt lgkmcnt(0)
	v_mov_b32_e32 v4, s1
	v_add_co_u32_e32 v2, vcc, s0, v2
	v_lshlrev_b32_e32 v1, 9, v1
	v_addc_co_u32_e32 v3, vcc, v4, v3, vcc
	v_and_b32_e32 v1, 0x3e00, v1
	v_add_co_u32_e32 v12, vcc, v2, v1
	v_addc_co_u32_e32 v13, vcc, 0, v3, vcc
	global_load_dwordx4 v[30:33], v[12:13], off
	global_load_dwordx4 v[34:37], v[12:13], off offset:16
	global_load_dwordx4 v[38:41], v[12:13], off offset:32
	;; [unrolled: 1-line block ×5, first 2 shown]
	v_or_b32_e32 v28, s4, v0
	v_lshlrev_b64 v[6:7], 3, v[28:29]
	v_mov_b32_e32 v1, v29
	v_or_b32_e32 v0, 0x200, v28
	v_mov_b32_e32 v8, s3
	v_add_co_u32_e32 v130, vcc, s2, v6
	v_lshlrev_b64 v[0:1], 3, v[0:1]
	v_addc_co_u32_e32 v131, vcc, v8, v7, vcc
	v_mov_b32_e32 v3, v29
	v_or_b32_e32 v2, 0x300, v28
	v_mov_b32_e32 v9, s3
	v_add_co_u32_e32 v132, vcc, s2, v0
	v_lshlrev_b64 v[2:3], 3, v[2:3]
	v_addc_co_u32_e32 v133, vcc, v9, v1, vcc
	;; [unrolled: 6-line block ×3, first 2 shown]
	v_mov_b32_e32 v11, s3
	v_add_co_u32_e32 v136, vcc, s2, v4
	v_addc_co_u32_e32 v137, vcc, v11, v5, vcc
	global_load_dwordx4 v[54:57], v[12:13], off offset:112
	global_load_dwordx4 v[58:61], v[12:13], off offset:96
	;; [unrolled: 1-line block ×25, first 2 shown]
	s_nop 0
	global_load_dwordx4 v[12:15], v[12:13], off offset:448
	s_waitcnt vmcnt(31)
	global_store_dwordx2 v[130:131], v[30:31], off
	global_store_dwordx2 v[130:131], v[32:33], off offset:2048
	s_waitcnt vmcnt(32)
	global_store_dwordx2 v[132:133], v[34:35], off
	global_store_dwordx2 v[134:135], v[36:37], off
	s_waitcnt vmcnt(33)
	global_store_dwordx2 v[136:137], v[38:39], off
	v_or_b32_e32 v30, 0x500, v28
	v_mov_b32_e32 v31, v29
	v_lshlrev_b64 v[30:31], 3, v[30:31]
	v_mov_b32_e32 v32, s3
	v_add_co_u32_e32 v30, vcc, s2, v30
	v_addc_co_u32_e32 v31, vcc, v32, v31, vcc
	global_store_dwordx2 v[30:31], v[40:41], off
	v_or_b32_e32 v30, 0x600, v28
	v_mov_b32_e32 v31, v29
	v_lshlrev_b64 v[30:31], 3, v[30:31]
	v_add_co_u32_e32 v30, vcc, s2, v30
	v_addc_co_u32_e32 v31, vcc, v32, v31, vcc
	s_waitcnt vmcnt(34)
	global_store_dwordx2 v[30:31], v[42:43], off
	v_or_b32_e32 v30, 0x700, v28
	v_mov_b32_e32 v31, v29
	v_lshlrev_b64 v[30:31], 3, v[30:31]
	v_add_co_u32_e32 v30, vcc, s2, v30
	v_addc_co_u32_e32 v31, vcc, v32, v31, vcc
	global_store_dwordx2 v[30:31], v[44:45], off
	v_or_b32_e32 v30, 0x800, v28
	v_mov_b32_e32 v31, v29
	v_lshlrev_b64 v[30:31], 3, v[30:31]
	v_add_co_u32_e32 v30, vcc, s2, v30
	v_addc_co_u32_e32 v31, vcc, v32, v31, vcc
	s_waitcnt vmcnt(34)
	global_store_dwordx2 v[30:31], v[50:51], off
	v_or_b32_e32 v30, 0x900, v28
	v_mov_b32_e32 v31, v29
	v_lshlrev_b64 v[30:31], 3, v[30:31]
	v_add_co_u32_e32 v30, vcc, s2, v30
	v_addc_co_u32_e32 v31, vcc, v32, v31, vcc
	global_store_dwordx2 v[30:31], v[52:53], off
	v_or_b32_e32 v30, 0xa00, v28
	v_mov_b32_e32 v31, v29
	v_lshlrev_b64 v[30:31], 3, v[30:31]
	v_add_co_u32_e32 v30, vcc, s2, v30
	v_addc_co_u32_e32 v31, vcc, v32, v31, vcc
	global_store_dwordx2 v[30:31], v[46:47], off
	v_or_b32_e32 v30, 0xb00, v28
	v_mov_b32_e32 v31, v29
	v_lshlrev_b64 v[30:31], 3, v[30:31]
	v_add_co_u32_e32 v30, vcc, s2, v30
	v_addc_co_u32_e32 v31, vcc, v32, v31, vcc
	global_store_dwordx2 v[30:31], v[48:49], off
	v_or_b32_e32 v30, 0xc00, v28
	v_mov_b32_e32 v31, v29
	v_lshlrev_b64 v[30:31], 3, v[30:31]
	v_add_co_u32_e32 v30, vcc, s2, v30
	v_addc_co_u32_e32 v31, vcc, v32, v31, vcc
	s_waitcnt vmcnt(36)
	global_store_dwordx2 v[30:31], v[58:59], off
	v_or_b32_e32 v30, 0xd00, v28
	v_mov_b32_e32 v31, v29
	v_lshlrev_b64 v[30:31], 3, v[30:31]
	v_add_co_u32_e32 v30, vcc, s2, v30
	v_addc_co_u32_e32 v31, vcc, v32, v31, vcc
	global_store_dwordx2 v[30:31], v[60:61], off
	v_or_b32_e32 v30, 0xe00, v28
	v_mov_b32_e32 v31, v29
	v_lshlrev_b64 v[30:31], 3, v[30:31]
	v_add_co_u32_e32 v30, vcc, s2, v30
	v_addc_co_u32_e32 v31, vcc, v32, v31, vcc
	;; [unrolled: 25-line block ×3, first 2 shown]
	global_store_dwordx2 v[30:31], v[70:71], off
	v_or_b32_e32 v30, 0x1300, v28
	v_mov_b32_e32 v31, v29
	v_lshlrev_b64 v[30:31], 3, v[30:31]
	v_add_co_u32_e32 v30, vcc, s2, v30
	v_addc_co_u32_e32 v31, vcc, v32, v31, vcc
	global_store_dwordx2 v[30:31], v[72:73], off
	v_or_b32_e32 v30, 0x1400, v28
	v_mov_b32_e32 v31, v29
	v_lshlrev_b64 v[30:31], 3, v[30:31]
	v_add_co_u32_e32 v30, vcc, s2, v30
	v_addc_co_u32_e32 v31, vcc, v32, v31, vcc
	global_store_dwordx2 v[30:31], v[66:67], off
	v_or_b32_e32 v30, 0x1500, v28
	v_mov_b32_e32 v31, v29
	v_lshlrev_b64 v[30:31], 3, v[30:31]
	v_add_co_u32_e32 v30, vcc, s2, v30
	v_addc_co_u32_e32 v31, vcc, v32, v31, vcc
	global_store_dwordx2 v[30:31], v[68:69], off
	v_or_b32_e32 v30, 0x1600, v28
	v_mov_b32_e32 v31, v29
	v_lshlrev_b64 v[30:31], 3, v[30:31]
	v_add_co_u32_e32 v30, vcc, s2, v30
	v_addc_co_u32_e32 v31, vcc, v32, v31, vcc
	global_store_dwordx2 v[30:31], v[62:63], off
	v_or_b32_e32 v30, 0x1700, v28
	v_mov_b32_e32 v31, v29
	v_lshlrev_b64 v[30:31], 3, v[30:31]
	v_add_co_u32_e32 v30, vcc, s2, v30
	v_addc_co_u32_e32 v31, vcc, v32, v31, vcc
	global_store_dwordx2 v[30:31], v[64:65], off
	v_or_b32_e32 v30, 0x1800, v28
	v_mov_b32_e32 v31, v29
	v_lshlrev_b64 v[30:31], 3, v[30:31]
	v_add_co_u32_e32 v30, vcc, s2, v30
	v_addc_co_u32_e32 v31, vcc, v32, v31, vcc
	s_waitcnt vmcnt(40)
	global_store_dwordx2 v[30:31], v[90:91], off
	v_or_b32_e32 v30, 0x1900, v28
	v_mov_b32_e32 v31, v29
	v_lshlrev_b64 v[30:31], 3, v[30:31]
	v_add_co_u32_e32 v30, vcc, s2, v30
	v_addc_co_u32_e32 v31, vcc, v32, v31, vcc
	global_store_dwordx2 v[30:31], v[92:93], off
	v_or_b32_e32 v30, 0x1a00, v28
	v_mov_b32_e32 v31, v29
	v_lshlrev_b64 v[30:31], 3, v[30:31]
	v_add_co_u32_e32 v30, vcc, s2, v30
	v_addc_co_u32_e32 v31, vcc, v32, v31, vcc
	global_store_dwordx2 v[30:31], v[86:87], off
	v_or_b32_e32 v30, 0x1b00, v28
	v_mov_b32_e32 v31, v29
	v_lshlrev_b64 v[30:31], 3, v[30:31]
	v_add_co_u32_e32 v30, vcc, s2, v30
	v_addc_co_u32_e32 v31, vcc, v32, v31, vcc
	global_store_dwordx2 v[30:31], v[88:89], off
	v_or_b32_e32 v30, 0x1c00, v28
	v_mov_b32_e32 v31, v29
	v_lshlrev_b64 v[30:31], 3, v[30:31]
	v_add_co_u32_e32 v30, vcc, s2, v30
	v_addc_co_u32_e32 v31, vcc, v32, v31, vcc
	global_store_dwordx2 v[30:31], v[82:83], off
	v_or_b32_e32 v30, 0x1d00, v28
	v_mov_b32_e32 v31, v29
	v_lshlrev_b64 v[30:31], 3, v[30:31]
	v_add_co_u32_e32 v30, vcc, s2, v30
	v_addc_co_u32_e32 v31, vcc, v32, v31, vcc
	global_store_dwordx2 v[30:31], v[84:85], off
	v_or_b32_e32 v30, 0x1e00, v28
	v_mov_b32_e32 v31, v29
	v_lshlrev_b64 v[30:31], 3, v[30:31]
	v_add_co_u32_e32 v30, vcc, s2, v30
	v_addc_co_u32_e32 v31, vcc, v32, v31, vcc
	global_store_dwordx2 v[30:31], v[78:79], off
	v_or_b32_e32 v30, 0x1f00, v28
	v_mov_b32_e32 v31, v29
	v_lshlrev_b64 v[30:31], 3, v[30:31]
	v_add_co_u32_e32 v30, vcc, s2, v30
	v_addc_co_u32_e32 v31, vcc, v32, v31, vcc
	global_store_dwordx2 v[30:31], v[80:81], off
	v_or_b32_e32 v30, 0x2000, v28
	v_mov_b32_e32 v31, v29
	v_lshlrev_b64 v[30:31], 3, v[30:31]
	v_add_co_u32_e32 v30, vcc, s2, v30
	v_addc_co_u32_e32 v31, vcc, v32, v31, vcc
	s_waitcnt vmcnt(44)
	global_store_dwordx2 v[30:31], v[106:107], off
	v_or_b32_e32 v30, 0x2100, v28
	v_mov_b32_e32 v31, v29
	v_lshlrev_b64 v[30:31], 3, v[30:31]
	v_add_co_u32_e32 v30, vcc, s2, v30
	v_addc_co_u32_e32 v31, vcc, v32, v31, vcc
	global_store_dwordx2 v[30:31], v[108:109], off
	v_or_b32_e32 v30, 0x2200, v28
	v_mov_b32_e32 v31, v29
	v_lshlrev_b64 v[30:31], 3, v[30:31]
	v_add_co_u32_e32 v30, vcc, s2, v30
	v_addc_co_u32_e32 v31, vcc, v32, v31, vcc
	;; [unrolled: 49-line block ×4, first 2 shown]
	global_store_dwordx2 v[30:31], v[24:25], off
	v_or_b32_e32 v24, 0x3300, v28
	v_mov_b32_e32 v25, v29
	v_lshlrev_b64 v[24:25], 3, v[24:25]
	v_mov_b32_e32 v30, s3
	v_add_co_u32_e32 v24, vcc, s2, v24
	v_addc_co_u32_e32 v25, vcc, v30, v25, vcc
	global_store_dwordx2 v[24:25], v[26:27], off
	v_or_b32_e32 v24, 0x3400, v28
	v_mov_b32_e32 v25, v29
	v_lshlrev_b64 v[24:25], 3, v[24:25]
	v_mov_b32_e32 v26, s3
	v_add_co_u32_e32 v24, vcc, s2, v24
	v_addc_co_u32_e32 v25, vcc, v26, v25, vcc
	;; [unrolled: 7-line block ×6, first 2 shown]
	s_waitcnt vmcnt(56)
	global_store_dwordx2 v[16:17], v[12:13], off
	v_or_b32_e32 v12, 0x3900, v28
	v_mov_b32_e32 v13, v29
	v_lshlrev_b64 v[12:13], 3, v[12:13]
	v_mov_b32_e32 v16, s3
	v_add_co_u32_e32 v12, vcc, s2, v12
	v_addc_co_u32_e32 v13, vcc, v16, v13, vcc
	global_store_dwordx2 v[12:13], v[14:15], off
	v_or_b32_e32 v12, 0x3a00, v28
	v_mov_b32_e32 v13, v29
	v_lshlrev_b64 v[12:13], 3, v[12:13]
	v_mov_b32_e32 v14, s3
	v_add_co_u32_e32 v12, vcc, s2, v12
	v_addc_co_u32_e32 v13, vcc, v14, v13, vcc
	;; [unrolled: 7-line block ×6, first 2 shown]
	v_or_b32_e32 v28, 0x3f00, v28
	global_store_dwordx2 v[4:5], v[0:1], off
	v_lshlrev_b64 v[0:1], 3, v[28:29]
	v_mov_b32_e32 v4, s3
	v_add_co_u32_e32 v0, vcc, s2, v0
	v_addc_co_u32_e32 v1, vcc, v4, v1, vcc
	global_store_dwordx2 v[0:1], v[2:3], off
	s_endpgm
	.section	.rodata,"a",@progbits
	.p2align	6, 0x0
	.amdhsa_kernel _Z16warp_load_kernelILj256ELj64ELj32ELN6hipcub17WarpLoadAlgorithmE2EdEvPT3_S3_
		.amdhsa_group_segment_fixed_size 0
		.amdhsa_private_segment_fixed_size 0
		.amdhsa_kernarg_size 16
		.amdhsa_user_sgpr_count 6
		.amdhsa_user_sgpr_private_segment_buffer 1
		.amdhsa_user_sgpr_dispatch_ptr 0
		.amdhsa_user_sgpr_queue_ptr 0
		.amdhsa_user_sgpr_kernarg_segment_ptr 1
		.amdhsa_user_sgpr_dispatch_id 0
		.amdhsa_user_sgpr_flat_scratch_init 0
		.amdhsa_user_sgpr_kernarg_preload_length 0
		.amdhsa_user_sgpr_kernarg_preload_offset 0
		.amdhsa_user_sgpr_private_segment_size 0
		.amdhsa_uses_dynamic_stack 0
		.amdhsa_system_sgpr_private_segment_wavefront_offset 0
		.amdhsa_system_sgpr_workgroup_id_x 1
		.amdhsa_system_sgpr_workgroup_id_y 0
		.amdhsa_system_sgpr_workgroup_id_z 0
		.amdhsa_system_sgpr_workgroup_info 0
		.amdhsa_system_vgpr_workitem_id 0
		.amdhsa_next_free_vgpr 138
		.amdhsa_next_free_sgpr 7
		.amdhsa_accum_offset 140
		.amdhsa_reserve_vcc 1
		.amdhsa_reserve_flat_scratch 0
		.amdhsa_float_round_mode_32 0
		.amdhsa_float_round_mode_16_64 0
		.amdhsa_float_denorm_mode_32 3
		.amdhsa_float_denorm_mode_16_64 3
		.amdhsa_dx10_clamp 1
		.amdhsa_ieee_mode 1
		.amdhsa_fp16_overflow 0
		.amdhsa_tg_split 0
		.amdhsa_exception_fp_ieee_invalid_op 0
		.amdhsa_exception_fp_denorm_src 0
		.amdhsa_exception_fp_ieee_div_zero 0
		.amdhsa_exception_fp_ieee_overflow 0
		.amdhsa_exception_fp_ieee_underflow 0
		.amdhsa_exception_fp_ieee_inexact 0
		.amdhsa_exception_int_div_zero 0
	.end_amdhsa_kernel
	.section	.text._Z16warp_load_kernelILj256ELj64ELj32ELN6hipcub17WarpLoadAlgorithmE2EdEvPT3_S3_,"axG",@progbits,_Z16warp_load_kernelILj256ELj64ELj32ELN6hipcub17WarpLoadAlgorithmE2EdEvPT3_S3_,comdat
.Lfunc_end36:
	.size	_Z16warp_load_kernelILj256ELj64ELj32ELN6hipcub17WarpLoadAlgorithmE2EdEvPT3_S3_, .Lfunc_end36-_Z16warp_load_kernelILj256ELj64ELj32ELN6hipcub17WarpLoadAlgorithmE2EdEvPT3_S3_
                                        ; -- End function
	.section	.AMDGPU.csdata,"",@progbits
; Kernel info:
; codeLenInByte = 2740
; NumSgprs: 11
; NumVgprs: 138
; NumAgprs: 0
; TotalNumVgprs: 138
; ScratchSize: 0
; MemoryBound: 1
; FloatMode: 240
; IeeeMode: 1
; LDSByteSize: 0 bytes/workgroup (compile time only)
; SGPRBlocks: 1
; VGPRBlocks: 17
; NumSGPRsForWavesPerEU: 11
; NumVGPRsForWavesPerEU: 138
; AccumOffset: 140
; Occupancy: 3
; WaveLimiterHint : 1
; COMPUTE_PGM_RSRC2:SCRATCH_EN: 0
; COMPUTE_PGM_RSRC2:USER_SGPR: 6
; COMPUTE_PGM_RSRC2:TRAP_HANDLER: 0
; COMPUTE_PGM_RSRC2:TGID_X_EN: 1
; COMPUTE_PGM_RSRC2:TGID_Y_EN: 0
; COMPUTE_PGM_RSRC2:TGID_Z_EN: 0
; COMPUTE_PGM_RSRC2:TIDIG_COMP_CNT: 0
; COMPUTE_PGM_RSRC3_GFX90A:ACCUM_OFFSET: 34
; COMPUTE_PGM_RSRC3_GFX90A:TG_SPLIT: 0
	.section	.text._Z16warp_load_kernelILj256ELj4ELj64ELN6hipcub17WarpLoadAlgorithmE0EiEvPT3_S3_,"axG",@progbits,_Z16warp_load_kernelILj256ELj4ELj64ELN6hipcub17WarpLoadAlgorithmE0EiEvPT3_S3_,comdat
	.protected	_Z16warp_load_kernelILj256ELj4ELj64ELN6hipcub17WarpLoadAlgorithmE0EiEvPT3_S3_ ; -- Begin function _Z16warp_load_kernelILj256ELj4ELj64ELN6hipcub17WarpLoadAlgorithmE0EiEvPT3_S3_
	.globl	_Z16warp_load_kernelILj256ELj4ELj64ELN6hipcub17WarpLoadAlgorithmE0EiEvPT3_S3_
	.p2align	8
	.type	_Z16warp_load_kernelILj256ELj4ELj64ELN6hipcub17WarpLoadAlgorithmE0EiEvPT3_S3_,@function
_Z16warp_load_kernelILj256ELj4ELj64ELN6hipcub17WarpLoadAlgorithmE0EiEvPT3_S3_: ; @_Z16warp_load_kernelILj256ELj4ELj64ELN6hipcub17WarpLoadAlgorithmE0EiEvPT3_S3_
; %bb.0:
	s_load_dwordx4 s[0:3], s[4:5], 0x0
	v_lshlrev_b32_e32 v2, 2, v0
	s_lshl_b32 s4, s6, 10
	v_and_b32_e32 v2, 0x300, v2
	v_or_b32_e32 v6, s4, v2
	v_mov_b32_e32 v7, 0
	v_mbcnt_lo_u32_b32 v1, -1, 0
	v_lshlrev_b64 v[2:3], 2, v[6:7]
	v_mbcnt_hi_u32_b32 v1, -1, v1
	s_waitcnt lgkmcnt(0)
	v_mov_b32_e32 v4, s1
	v_add_co_u32_e32 v2, vcc, s0, v2
	v_addc_co_u32_e32 v3, vcc, v4, v3, vcc
	v_lshlrev_b32_e32 v1, 4, v1
	v_add_co_u32_e32 v2, vcc, v2, v1
	v_addc_co_u32_e32 v3, vcc, 0, v3, vcc
	global_load_dwordx4 v[2:5], v[2:3], off
	v_or_b32_e32 v6, s4, v0
	v_lshlrev_b64 v[10:11], 2, v[6:7]
	v_mov_b32_e32 v1, v7
	v_or_b32_e32 v0, 0x100, v6
	v_mov_b32_e32 v12, s3
	v_add_co_u32_e32 v10, vcc, s2, v10
	v_lshlrev_b64 v[0:1], 2, v[0:1]
	v_addc_co_u32_e32 v11, vcc, v12, v11, vcc
	v_mov_b32_e32 v9, v7
	v_or_b32_e32 v8, 0x200, v6
	v_mov_b32_e32 v13, s3
	v_add_co_u32_e32 v0, vcc, s2, v0
	v_lshlrev_b64 v[8:9], 2, v[8:9]
	v_addc_co_u32_e32 v1, vcc, v13, v1, vcc
	v_or_b32_e32 v6, 0x300, v6
	v_mov_b32_e32 v14, s3
	v_add_co_u32_e32 v8, vcc, s2, v8
	v_lshlrev_b64 v[6:7], 2, v[6:7]
	v_addc_co_u32_e32 v9, vcc, v14, v9, vcc
	v_mov_b32_e32 v15, s3
	v_add_co_u32_e32 v6, vcc, s2, v6
	v_addc_co_u32_e32 v7, vcc, v15, v7, vcc
	s_waitcnt vmcnt(0)
	global_store_dword v[10:11], v2, off
	global_store_dword v[0:1], v3, off
	;; [unrolled: 1-line block ×4, first 2 shown]
	s_endpgm
	.section	.rodata,"a",@progbits
	.p2align	6, 0x0
	.amdhsa_kernel _Z16warp_load_kernelILj256ELj4ELj64ELN6hipcub17WarpLoadAlgorithmE0EiEvPT3_S3_
		.amdhsa_group_segment_fixed_size 0
		.amdhsa_private_segment_fixed_size 0
		.amdhsa_kernarg_size 16
		.amdhsa_user_sgpr_count 6
		.amdhsa_user_sgpr_private_segment_buffer 1
		.amdhsa_user_sgpr_dispatch_ptr 0
		.amdhsa_user_sgpr_queue_ptr 0
		.amdhsa_user_sgpr_kernarg_segment_ptr 1
		.amdhsa_user_sgpr_dispatch_id 0
		.amdhsa_user_sgpr_flat_scratch_init 0
		.amdhsa_user_sgpr_kernarg_preload_length 0
		.amdhsa_user_sgpr_kernarg_preload_offset 0
		.amdhsa_user_sgpr_private_segment_size 0
		.amdhsa_uses_dynamic_stack 0
		.amdhsa_system_sgpr_private_segment_wavefront_offset 0
		.amdhsa_system_sgpr_workgroup_id_x 1
		.amdhsa_system_sgpr_workgroup_id_y 0
		.amdhsa_system_sgpr_workgroup_id_z 0
		.amdhsa_system_sgpr_workgroup_info 0
		.amdhsa_system_vgpr_workitem_id 0
		.amdhsa_next_free_vgpr 16
		.amdhsa_next_free_sgpr 7
		.amdhsa_accum_offset 16
		.amdhsa_reserve_vcc 1
		.amdhsa_reserve_flat_scratch 0
		.amdhsa_float_round_mode_32 0
		.amdhsa_float_round_mode_16_64 0
		.amdhsa_float_denorm_mode_32 3
		.amdhsa_float_denorm_mode_16_64 3
		.amdhsa_dx10_clamp 1
		.amdhsa_ieee_mode 1
		.amdhsa_fp16_overflow 0
		.amdhsa_tg_split 0
		.amdhsa_exception_fp_ieee_invalid_op 0
		.amdhsa_exception_fp_denorm_src 0
		.amdhsa_exception_fp_ieee_div_zero 0
		.amdhsa_exception_fp_ieee_overflow 0
		.amdhsa_exception_fp_ieee_underflow 0
		.amdhsa_exception_fp_ieee_inexact 0
		.amdhsa_exception_int_div_zero 0
	.end_amdhsa_kernel
	.section	.text._Z16warp_load_kernelILj256ELj4ELj64ELN6hipcub17WarpLoadAlgorithmE0EiEvPT3_S3_,"axG",@progbits,_Z16warp_load_kernelILj256ELj4ELj64ELN6hipcub17WarpLoadAlgorithmE0EiEvPT3_S3_,comdat
.Lfunc_end37:
	.size	_Z16warp_load_kernelILj256ELj4ELj64ELN6hipcub17WarpLoadAlgorithmE0EiEvPT3_S3_, .Lfunc_end37-_Z16warp_load_kernelILj256ELj4ELj64ELN6hipcub17WarpLoadAlgorithmE0EiEvPT3_S3_
                                        ; -- End function
	.section	.AMDGPU.csdata,"",@progbits
; Kernel info:
; codeLenInByte = 248
; NumSgprs: 11
; NumVgprs: 16
; NumAgprs: 0
; TotalNumVgprs: 16
; ScratchSize: 0
; MemoryBound: 0
; FloatMode: 240
; IeeeMode: 1
; LDSByteSize: 0 bytes/workgroup (compile time only)
; SGPRBlocks: 1
; VGPRBlocks: 1
; NumSGPRsForWavesPerEU: 11
; NumVGPRsForWavesPerEU: 16
; AccumOffset: 16
; Occupancy: 8
; WaveLimiterHint : 0
; COMPUTE_PGM_RSRC2:SCRATCH_EN: 0
; COMPUTE_PGM_RSRC2:USER_SGPR: 6
; COMPUTE_PGM_RSRC2:TRAP_HANDLER: 0
; COMPUTE_PGM_RSRC2:TGID_X_EN: 1
; COMPUTE_PGM_RSRC2:TGID_Y_EN: 0
; COMPUTE_PGM_RSRC2:TGID_Z_EN: 0
; COMPUTE_PGM_RSRC2:TIDIG_COMP_CNT: 0
; COMPUTE_PGM_RSRC3_GFX90A:ACCUM_OFFSET: 3
; COMPUTE_PGM_RSRC3_GFX90A:TG_SPLIT: 0
	.section	.text._Z16warp_load_kernelILj256ELj4ELj64ELN6hipcub17WarpLoadAlgorithmE1EiEvPT3_S3_,"axG",@progbits,_Z16warp_load_kernelILj256ELj4ELj64ELN6hipcub17WarpLoadAlgorithmE1EiEvPT3_S3_,comdat
	.protected	_Z16warp_load_kernelILj256ELj4ELj64ELN6hipcub17WarpLoadAlgorithmE1EiEvPT3_S3_ ; -- Begin function _Z16warp_load_kernelILj256ELj4ELj64ELN6hipcub17WarpLoadAlgorithmE1EiEvPT3_S3_
	.globl	_Z16warp_load_kernelILj256ELj4ELj64ELN6hipcub17WarpLoadAlgorithmE1EiEvPT3_S3_
	.p2align	8
	.type	_Z16warp_load_kernelILj256ELj4ELj64ELN6hipcub17WarpLoadAlgorithmE1EiEvPT3_S3_,@function
_Z16warp_load_kernelILj256ELj4ELj64ELN6hipcub17WarpLoadAlgorithmE1EiEvPT3_S3_: ; @_Z16warp_load_kernelILj256ELj4ELj64ELN6hipcub17WarpLoadAlgorithmE1EiEvPT3_S3_
; %bb.0:
	s_load_dwordx4 s[0:3], s[4:5], 0x0
	v_lshlrev_b32_e32 v2, 2, v0
	s_lshl_b32 s4, s6, 10
	v_and_b32_e32 v2, 0x300, v2
	v_or_b32_e32 v2, s4, v2
	v_mov_b32_e32 v3, 0
	v_mbcnt_lo_u32_b32 v1, -1, 0
	v_lshlrev_b64 v[4:5], 2, v[2:3]
	v_mbcnt_hi_u32_b32 v1, -1, v1
	s_waitcnt lgkmcnt(0)
	v_mov_b32_e32 v2, s1
	v_add_co_u32_e32 v4, vcc, s0, v4
	v_addc_co_u32_e32 v2, vcc, v2, v5, vcc
	v_lshlrev_b32_e32 v5, 2, v1
	v_add_co_u32_e32 v4, vcc, v4, v5
	v_lshlrev_b32_e32 v1, 4, v1
	v_addc_co_u32_e32 v2, vcc, 0, v2, vcc
	v_and_b32_e32 v1, 0x400, v1
	v_add_co_u32_e32 v4, vcc, v4, v1
	v_addc_co_u32_e32 v5, vcc, 0, v2, vcc
	global_load_dword v8, v[4:5], off
	global_load_dword v9, v[4:5], off offset:256
	global_load_dword v10, v[4:5], off offset:512
	;; [unrolled: 1-line block ×3, first 2 shown]
	v_or_b32_e32 v2, s4, v0
	v_lshlrev_b64 v[6:7], 2, v[2:3]
	v_mov_b32_e32 v1, v3
	v_or_b32_e32 v0, 0x100, v2
	v_mov_b32_e32 v12, s3
	v_add_co_u32_e32 v6, vcc, s2, v6
	v_lshlrev_b64 v[0:1], 2, v[0:1]
	v_addc_co_u32_e32 v7, vcc, v12, v7, vcc
	v_mov_b32_e32 v5, v3
	v_or_b32_e32 v4, 0x200, v2
	v_mov_b32_e32 v13, s3
	v_add_co_u32_e32 v0, vcc, s2, v0
	v_lshlrev_b64 v[4:5], 2, v[4:5]
	v_addc_co_u32_e32 v1, vcc, v13, v1, vcc
	v_or_b32_e32 v2, 0x300, v2
	v_mov_b32_e32 v14, s3
	v_add_co_u32_e32 v4, vcc, s2, v4
	v_lshlrev_b64 v[2:3], 2, v[2:3]
	v_addc_co_u32_e32 v5, vcc, v14, v5, vcc
	v_mov_b32_e32 v15, s3
	v_add_co_u32_e32 v2, vcc, s2, v2
	v_addc_co_u32_e32 v3, vcc, v15, v3, vcc
	s_waitcnt vmcnt(3)
	global_store_dword v[6:7], v8, off
	s_waitcnt vmcnt(3)
	global_store_dword v[0:1], v9, off
	;; [unrolled: 2-line block ×4, first 2 shown]
	s_endpgm
	.section	.rodata,"a",@progbits
	.p2align	6, 0x0
	.amdhsa_kernel _Z16warp_load_kernelILj256ELj4ELj64ELN6hipcub17WarpLoadAlgorithmE1EiEvPT3_S3_
		.amdhsa_group_segment_fixed_size 0
		.amdhsa_private_segment_fixed_size 0
		.amdhsa_kernarg_size 16
		.amdhsa_user_sgpr_count 6
		.amdhsa_user_sgpr_private_segment_buffer 1
		.amdhsa_user_sgpr_dispatch_ptr 0
		.amdhsa_user_sgpr_queue_ptr 0
		.amdhsa_user_sgpr_kernarg_segment_ptr 1
		.amdhsa_user_sgpr_dispatch_id 0
		.amdhsa_user_sgpr_flat_scratch_init 0
		.amdhsa_user_sgpr_kernarg_preload_length 0
		.amdhsa_user_sgpr_kernarg_preload_offset 0
		.amdhsa_user_sgpr_private_segment_size 0
		.amdhsa_uses_dynamic_stack 0
		.amdhsa_system_sgpr_private_segment_wavefront_offset 0
		.amdhsa_system_sgpr_workgroup_id_x 1
		.amdhsa_system_sgpr_workgroup_id_y 0
		.amdhsa_system_sgpr_workgroup_id_z 0
		.amdhsa_system_sgpr_workgroup_info 0
		.amdhsa_system_vgpr_workitem_id 0
		.amdhsa_next_free_vgpr 16
		.amdhsa_next_free_sgpr 7
		.amdhsa_accum_offset 16
		.amdhsa_reserve_vcc 1
		.amdhsa_reserve_flat_scratch 0
		.amdhsa_float_round_mode_32 0
		.amdhsa_float_round_mode_16_64 0
		.amdhsa_float_denorm_mode_32 3
		.amdhsa_float_denorm_mode_16_64 3
		.amdhsa_dx10_clamp 1
		.amdhsa_ieee_mode 1
		.amdhsa_fp16_overflow 0
		.amdhsa_tg_split 0
		.amdhsa_exception_fp_ieee_invalid_op 0
		.amdhsa_exception_fp_denorm_src 0
		.amdhsa_exception_fp_ieee_div_zero 0
		.amdhsa_exception_fp_ieee_overflow 0
		.amdhsa_exception_fp_ieee_underflow 0
		.amdhsa_exception_fp_ieee_inexact 0
		.amdhsa_exception_int_div_zero 0
	.end_amdhsa_kernel
	.section	.text._Z16warp_load_kernelILj256ELj4ELj64ELN6hipcub17WarpLoadAlgorithmE1EiEvPT3_S3_,"axG",@progbits,_Z16warp_load_kernelILj256ELj4ELj64ELN6hipcub17WarpLoadAlgorithmE1EiEvPT3_S3_,comdat
.Lfunc_end38:
	.size	_Z16warp_load_kernelILj256ELj4ELj64ELN6hipcub17WarpLoadAlgorithmE1EiEvPT3_S3_, .Lfunc_end38-_Z16warp_load_kernelILj256ELj4ELj64ELN6hipcub17WarpLoadAlgorithmE1EiEvPT3_S3_
                                        ; -- End function
	.section	.AMDGPU.csdata,"",@progbits
; Kernel info:
; codeLenInByte = 304
; NumSgprs: 11
; NumVgprs: 16
; NumAgprs: 0
; TotalNumVgprs: 16
; ScratchSize: 0
; MemoryBound: 0
; FloatMode: 240
; IeeeMode: 1
; LDSByteSize: 0 bytes/workgroup (compile time only)
; SGPRBlocks: 1
; VGPRBlocks: 1
; NumSGPRsForWavesPerEU: 11
; NumVGPRsForWavesPerEU: 16
; AccumOffset: 16
; Occupancy: 8
; WaveLimiterHint : 1
; COMPUTE_PGM_RSRC2:SCRATCH_EN: 0
; COMPUTE_PGM_RSRC2:USER_SGPR: 6
; COMPUTE_PGM_RSRC2:TRAP_HANDLER: 0
; COMPUTE_PGM_RSRC2:TGID_X_EN: 1
; COMPUTE_PGM_RSRC2:TGID_Y_EN: 0
; COMPUTE_PGM_RSRC2:TGID_Z_EN: 0
; COMPUTE_PGM_RSRC2:TIDIG_COMP_CNT: 0
; COMPUTE_PGM_RSRC3_GFX90A:ACCUM_OFFSET: 3
; COMPUTE_PGM_RSRC3_GFX90A:TG_SPLIT: 0
	.section	.text._Z16warp_load_kernelILj256ELj4ELj64ELN6hipcub17WarpLoadAlgorithmE2EiEvPT3_S3_,"axG",@progbits,_Z16warp_load_kernelILj256ELj4ELj64ELN6hipcub17WarpLoadAlgorithmE2EiEvPT3_S3_,comdat
	.protected	_Z16warp_load_kernelILj256ELj4ELj64ELN6hipcub17WarpLoadAlgorithmE2EiEvPT3_S3_ ; -- Begin function _Z16warp_load_kernelILj256ELj4ELj64ELN6hipcub17WarpLoadAlgorithmE2EiEvPT3_S3_
	.globl	_Z16warp_load_kernelILj256ELj4ELj64ELN6hipcub17WarpLoadAlgorithmE2EiEvPT3_S3_
	.p2align	8
	.type	_Z16warp_load_kernelILj256ELj4ELj64ELN6hipcub17WarpLoadAlgorithmE2EiEvPT3_S3_,@function
_Z16warp_load_kernelILj256ELj4ELj64ELN6hipcub17WarpLoadAlgorithmE2EiEvPT3_S3_: ; @_Z16warp_load_kernelILj256ELj4ELj64ELN6hipcub17WarpLoadAlgorithmE2EiEvPT3_S3_
; %bb.0:
	s_load_dwordx4 s[0:3], s[4:5], 0x0
	v_lshlrev_b32_e32 v2, 2, v0
	s_lshl_b32 s4, s6, 10
	v_and_b32_e32 v2, 0x300, v2
	v_or_b32_e32 v6, s4, v2
	v_mov_b32_e32 v7, 0
	v_mbcnt_lo_u32_b32 v1, -1, 0
	v_lshlrev_b64 v[2:3], 2, v[6:7]
	v_mbcnt_hi_u32_b32 v1, -1, v1
	s_waitcnt lgkmcnt(0)
	v_mov_b32_e32 v4, s1
	v_add_co_u32_e32 v2, vcc, s0, v2
	v_addc_co_u32_e32 v3, vcc, v4, v3, vcc
	v_lshlrev_b32_e32 v1, 4, v1
	v_add_co_u32_e32 v2, vcc, v2, v1
	v_addc_co_u32_e32 v3, vcc, 0, v3, vcc
	global_load_dwordx4 v[2:5], v[2:3], off
	v_or_b32_e32 v6, s4, v0
	v_lshlrev_b64 v[10:11], 2, v[6:7]
	v_mov_b32_e32 v1, v7
	v_or_b32_e32 v0, 0x100, v6
	v_mov_b32_e32 v12, s3
	v_add_co_u32_e32 v10, vcc, s2, v10
	v_lshlrev_b64 v[0:1], 2, v[0:1]
	v_addc_co_u32_e32 v11, vcc, v12, v11, vcc
	v_mov_b32_e32 v9, v7
	v_or_b32_e32 v8, 0x200, v6
	v_mov_b32_e32 v13, s3
	v_add_co_u32_e32 v0, vcc, s2, v0
	v_lshlrev_b64 v[8:9], 2, v[8:9]
	v_addc_co_u32_e32 v1, vcc, v13, v1, vcc
	v_or_b32_e32 v6, 0x300, v6
	v_mov_b32_e32 v14, s3
	v_add_co_u32_e32 v8, vcc, s2, v8
	v_lshlrev_b64 v[6:7], 2, v[6:7]
	v_addc_co_u32_e32 v9, vcc, v14, v9, vcc
	v_mov_b32_e32 v15, s3
	v_add_co_u32_e32 v6, vcc, s2, v6
	v_addc_co_u32_e32 v7, vcc, v15, v7, vcc
	s_waitcnt vmcnt(0)
	global_store_dword v[10:11], v2, off
	global_store_dword v[0:1], v3, off
	;; [unrolled: 1-line block ×4, first 2 shown]
	s_endpgm
	.section	.rodata,"a",@progbits
	.p2align	6, 0x0
	.amdhsa_kernel _Z16warp_load_kernelILj256ELj4ELj64ELN6hipcub17WarpLoadAlgorithmE2EiEvPT3_S3_
		.amdhsa_group_segment_fixed_size 0
		.amdhsa_private_segment_fixed_size 0
		.amdhsa_kernarg_size 16
		.amdhsa_user_sgpr_count 6
		.amdhsa_user_sgpr_private_segment_buffer 1
		.amdhsa_user_sgpr_dispatch_ptr 0
		.amdhsa_user_sgpr_queue_ptr 0
		.amdhsa_user_sgpr_kernarg_segment_ptr 1
		.amdhsa_user_sgpr_dispatch_id 0
		.amdhsa_user_sgpr_flat_scratch_init 0
		.amdhsa_user_sgpr_kernarg_preload_length 0
		.amdhsa_user_sgpr_kernarg_preload_offset 0
		.amdhsa_user_sgpr_private_segment_size 0
		.amdhsa_uses_dynamic_stack 0
		.amdhsa_system_sgpr_private_segment_wavefront_offset 0
		.amdhsa_system_sgpr_workgroup_id_x 1
		.amdhsa_system_sgpr_workgroup_id_y 0
		.amdhsa_system_sgpr_workgroup_id_z 0
		.amdhsa_system_sgpr_workgroup_info 0
		.amdhsa_system_vgpr_workitem_id 0
		.amdhsa_next_free_vgpr 16
		.amdhsa_next_free_sgpr 7
		.amdhsa_accum_offset 16
		.amdhsa_reserve_vcc 1
		.amdhsa_reserve_flat_scratch 0
		.amdhsa_float_round_mode_32 0
		.amdhsa_float_round_mode_16_64 0
		.amdhsa_float_denorm_mode_32 3
		.amdhsa_float_denorm_mode_16_64 3
		.amdhsa_dx10_clamp 1
		.amdhsa_ieee_mode 1
		.amdhsa_fp16_overflow 0
		.amdhsa_tg_split 0
		.amdhsa_exception_fp_ieee_invalid_op 0
		.amdhsa_exception_fp_denorm_src 0
		.amdhsa_exception_fp_ieee_div_zero 0
		.amdhsa_exception_fp_ieee_overflow 0
		.amdhsa_exception_fp_ieee_underflow 0
		.amdhsa_exception_fp_ieee_inexact 0
		.amdhsa_exception_int_div_zero 0
	.end_amdhsa_kernel
	.section	.text._Z16warp_load_kernelILj256ELj4ELj64ELN6hipcub17WarpLoadAlgorithmE2EiEvPT3_S3_,"axG",@progbits,_Z16warp_load_kernelILj256ELj4ELj64ELN6hipcub17WarpLoadAlgorithmE2EiEvPT3_S3_,comdat
.Lfunc_end39:
	.size	_Z16warp_load_kernelILj256ELj4ELj64ELN6hipcub17WarpLoadAlgorithmE2EiEvPT3_S3_, .Lfunc_end39-_Z16warp_load_kernelILj256ELj4ELj64ELN6hipcub17WarpLoadAlgorithmE2EiEvPT3_S3_
                                        ; -- End function
	.section	.AMDGPU.csdata,"",@progbits
; Kernel info:
; codeLenInByte = 248
; NumSgprs: 11
; NumVgprs: 16
; NumAgprs: 0
; TotalNumVgprs: 16
; ScratchSize: 0
; MemoryBound: 0
; FloatMode: 240
; IeeeMode: 1
; LDSByteSize: 0 bytes/workgroup (compile time only)
; SGPRBlocks: 1
; VGPRBlocks: 1
; NumSGPRsForWavesPerEU: 11
; NumVGPRsForWavesPerEU: 16
; AccumOffset: 16
; Occupancy: 8
; WaveLimiterHint : 0
; COMPUTE_PGM_RSRC2:SCRATCH_EN: 0
; COMPUTE_PGM_RSRC2:USER_SGPR: 6
; COMPUTE_PGM_RSRC2:TRAP_HANDLER: 0
; COMPUTE_PGM_RSRC2:TGID_X_EN: 1
; COMPUTE_PGM_RSRC2:TGID_Y_EN: 0
; COMPUTE_PGM_RSRC2:TGID_Z_EN: 0
; COMPUTE_PGM_RSRC2:TIDIG_COMP_CNT: 0
; COMPUTE_PGM_RSRC3_GFX90A:ACCUM_OFFSET: 3
; COMPUTE_PGM_RSRC3_GFX90A:TG_SPLIT: 0
	.section	.text._Z16warp_load_kernelILj256ELj4ELj64ELN6hipcub17WarpLoadAlgorithmE3EiEvPT3_S3_,"axG",@progbits,_Z16warp_load_kernelILj256ELj4ELj64ELN6hipcub17WarpLoadAlgorithmE3EiEvPT3_S3_,comdat
	.protected	_Z16warp_load_kernelILj256ELj4ELj64ELN6hipcub17WarpLoadAlgorithmE3EiEvPT3_S3_ ; -- Begin function _Z16warp_load_kernelILj256ELj4ELj64ELN6hipcub17WarpLoadAlgorithmE3EiEvPT3_S3_
	.globl	_Z16warp_load_kernelILj256ELj4ELj64ELN6hipcub17WarpLoadAlgorithmE3EiEvPT3_S3_
	.p2align	8
	.type	_Z16warp_load_kernelILj256ELj4ELj64ELN6hipcub17WarpLoadAlgorithmE3EiEvPT3_S3_,@function
_Z16warp_load_kernelILj256ELj4ELj64ELN6hipcub17WarpLoadAlgorithmE3EiEvPT3_S3_: ; @_Z16warp_load_kernelILj256ELj4ELj64ELN6hipcub17WarpLoadAlgorithmE3EiEvPT3_S3_
; %bb.0:
	s_load_dwordx4 s[0:3], s[4:5], 0x0
	v_lshrrev_b32_e32 v6, 6, v0
	s_lshl_b32 s4, s6, 10
	v_lshl_or_b32 v2, v6, 8, s4
	v_mov_b32_e32 v3, 0
	v_mbcnt_lo_u32_b32 v1, -1, 0
	v_lshlrev_b64 v[4:5], 2, v[2:3]
	v_mbcnt_hi_u32_b32 v1, -1, v1
	s_waitcnt lgkmcnt(0)
	v_mov_b32_e32 v2, s1
	v_add_co_u32_e32 v4, vcc, s0, v4
	v_addc_co_u32_e32 v2, vcc, v2, v5, vcc
	v_lshlrev_b32_e32 v7, 2, v1
	v_add_co_u32_e32 v4, vcc, v4, v7
	v_lshlrev_b32_e32 v8, 4, v1
	v_addc_co_u32_e32 v2, vcc, 0, v2, vcc
	v_and_b32_e32 v1, 0x400, v8
	v_add_co_u32_e32 v4, vcc, v4, v1
	v_addc_co_u32_e32 v5, vcc, 0, v2, vcc
	global_load_dword v12, v[4:5], off
	global_load_dword v13, v[4:5], off offset:256
	global_load_dword v14, v[4:5], off offset:512
	;; [unrolled: 1-line block ×3, first 2 shown]
	v_lshlrev_b32_e32 v2, 10, v6
	v_or_b32_e32 v16, v2, v7
	v_add_u32_e32 v17, v2, v8
	v_or_b32_e32 v2, s4, v0
	v_lshlrev_b64 v[6:7], 2, v[2:3]
	v_or_b32_e32 v0, 0x100, v2
	v_or_b32_e32 v4, 0x200, v2
	;; [unrolled: 1-line block ×3, first 2 shown]
	v_mov_b32_e32 v1, v3
	v_lshlrev_b64 v[8:9], 2, v[2:3]
	v_mov_b32_e32 v2, s3
	v_add_co_u32_e32 v6, vcc, s2, v6
	v_lshlrev_b64 v[0:1], 2, v[0:1]
	v_addc_co_u32_e32 v7, vcc, v2, v7, vcc
	v_mov_b32_e32 v5, v3
	v_mov_b32_e32 v3, s3
	v_add_co_u32_e32 v10, vcc, s2, v0
	v_addc_co_u32_e32 v11, vcc, v3, v1, vcc
	v_lshlrev_b64 v[4:5], 2, v[4:5]
	v_mov_b32_e32 v18, s3
	v_add_co_u32_e32 v4, vcc, s2, v4
	v_addc_co_u32_e32 v5, vcc, v18, v5, vcc
	v_mov_b32_e32 v19, s3
	v_add_co_u32_e32 v8, vcc, s2, v8
	v_addc_co_u32_e32 v9, vcc, v19, v9, vcc
	s_waitcnt vmcnt(2)
	ds_write2st64_b32 v16, v12, v13 offset1:1
	s_waitcnt vmcnt(0)
	ds_write2st64_b32 v16, v14, v15 offset0:2 offset1:3
	; wave barrier
	ds_read_b128 v[0:3], v17
	s_waitcnt lgkmcnt(0)
	global_store_dword v[6:7], v0, off
	global_store_dword v[10:11], v1, off
	global_store_dword v[4:5], v2, off
	global_store_dword v[8:9], v3, off
	s_endpgm
	.section	.rodata,"a",@progbits
	.p2align	6, 0x0
	.amdhsa_kernel _Z16warp_load_kernelILj256ELj4ELj64ELN6hipcub17WarpLoadAlgorithmE3EiEvPT3_S3_
		.amdhsa_group_segment_fixed_size 4096
		.amdhsa_private_segment_fixed_size 0
		.amdhsa_kernarg_size 16
		.amdhsa_user_sgpr_count 6
		.amdhsa_user_sgpr_private_segment_buffer 1
		.amdhsa_user_sgpr_dispatch_ptr 0
		.amdhsa_user_sgpr_queue_ptr 0
		.amdhsa_user_sgpr_kernarg_segment_ptr 1
		.amdhsa_user_sgpr_dispatch_id 0
		.amdhsa_user_sgpr_flat_scratch_init 0
		.amdhsa_user_sgpr_kernarg_preload_length 0
		.amdhsa_user_sgpr_kernarg_preload_offset 0
		.amdhsa_user_sgpr_private_segment_size 0
		.amdhsa_uses_dynamic_stack 0
		.amdhsa_system_sgpr_private_segment_wavefront_offset 0
		.amdhsa_system_sgpr_workgroup_id_x 1
		.amdhsa_system_sgpr_workgroup_id_y 0
		.amdhsa_system_sgpr_workgroup_id_z 0
		.amdhsa_system_sgpr_workgroup_info 0
		.amdhsa_system_vgpr_workitem_id 0
		.amdhsa_next_free_vgpr 20
		.amdhsa_next_free_sgpr 7
		.amdhsa_accum_offset 20
		.amdhsa_reserve_vcc 1
		.amdhsa_reserve_flat_scratch 0
		.amdhsa_float_round_mode_32 0
		.amdhsa_float_round_mode_16_64 0
		.amdhsa_float_denorm_mode_32 3
		.amdhsa_float_denorm_mode_16_64 3
		.amdhsa_dx10_clamp 1
		.amdhsa_ieee_mode 1
		.amdhsa_fp16_overflow 0
		.amdhsa_tg_split 0
		.amdhsa_exception_fp_ieee_invalid_op 0
		.amdhsa_exception_fp_denorm_src 0
		.amdhsa_exception_fp_ieee_div_zero 0
		.amdhsa_exception_fp_ieee_overflow 0
		.amdhsa_exception_fp_ieee_underflow 0
		.amdhsa_exception_fp_ieee_inexact 0
		.amdhsa_exception_int_div_zero 0
	.end_amdhsa_kernel
	.section	.text._Z16warp_load_kernelILj256ELj4ELj64ELN6hipcub17WarpLoadAlgorithmE3EiEvPT3_S3_,"axG",@progbits,_Z16warp_load_kernelILj256ELj4ELj64ELN6hipcub17WarpLoadAlgorithmE3EiEvPT3_S3_,comdat
.Lfunc_end40:
	.size	_Z16warp_load_kernelILj256ELj4ELj64ELN6hipcub17WarpLoadAlgorithmE3EiEvPT3_S3_, .Lfunc_end40-_Z16warp_load_kernelILj256ELj4ELj64ELN6hipcub17WarpLoadAlgorithmE3EiEvPT3_S3_
                                        ; -- End function
	.section	.AMDGPU.csdata,"",@progbits
; Kernel info:
; codeLenInByte = 332
; NumSgprs: 11
; NumVgprs: 20
; NumAgprs: 0
; TotalNumVgprs: 20
; ScratchSize: 0
; MemoryBound: 0
; FloatMode: 240
; IeeeMode: 1
; LDSByteSize: 4096 bytes/workgroup (compile time only)
; SGPRBlocks: 1
; VGPRBlocks: 2
; NumSGPRsForWavesPerEU: 11
; NumVGPRsForWavesPerEU: 20
; AccumOffset: 20
; Occupancy: 8
; WaveLimiterHint : 1
; COMPUTE_PGM_RSRC2:SCRATCH_EN: 0
; COMPUTE_PGM_RSRC2:USER_SGPR: 6
; COMPUTE_PGM_RSRC2:TRAP_HANDLER: 0
; COMPUTE_PGM_RSRC2:TGID_X_EN: 1
; COMPUTE_PGM_RSRC2:TGID_Y_EN: 0
; COMPUTE_PGM_RSRC2:TGID_Z_EN: 0
; COMPUTE_PGM_RSRC2:TIDIG_COMP_CNT: 0
; COMPUTE_PGM_RSRC3_GFX90A:ACCUM_OFFSET: 4
; COMPUTE_PGM_RSRC3_GFX90A:TG_SPLIT: 0
	.section	.text._Z16warp_load_kernelILj256ELj8ELj64ELN6hipcub17WarpLoadAlgorithmE0EiEvPT3_S3_,"axG",@progbits,_Z16warp_load_kernelILj256ELj8ELj64ELN6hipcub17WarpLoadAlgorithmE0EiEvPT3_S3_,comdat
	.protected	_Z16warp_load_kernelILj256ELj8ELj64ELN6hipcub17WarpLoadAlgorithmE0EiEvPT3_S3_ ; -- Begin function _Z16warp_load_kernelILj256ELj8ELj64ELN6hipcub17WarpLoadAlgorithmE0EiEvPT3_S3_
	.globl	_Z16warp_load_kernelILj256ELj8ELj64ELN6hipcub17WarpLoadAlgorithmE0EiEvPT3_S3_
	.p2align	8
	.type	_Z16warp_load_kernelILj256ELj8ELj64ELN6hipcub17WarpLoadAlgorithmE0EiEvPT3_S3_,@function
_Z16warp_load_kernelILj256ELj8ELj64ELN6hipcub17WarpLoadAlgorithmE0EiEvPT3_S3_: ; @_Z16warp_load_kernelILj256ELj8ELj64ELN6hipcub17WarpLoadAlgorithmE0EiEvPT3_S3_
; %bb.0:
	s_load_dwordx4 s[0:3], s[4:5], 0x0
	v_lshlrev_b32_e32 v2, 3, v0
	s_lshl_b32 s4, s6, 11
	v_and_b32_e32 v2, 0x600, v2
	v_or_b32_e32 v10, s4, v2
	v_mov_b32_e32 v11, 0
	v_mbcnt_lo_u32_b32 v1, -1, 0
	v_lshlrev_b64 v[2:3], 2, v[10:11]
	v_mbcnt_hi_u32_b32 v1, -1, v1
	s_waitcnt lgkmcnt(0)
	v_mov_b32_e32 v4, s1
	v_add_co_u32_e32 v2, vcc, s0, v2
	v_addc_co_u32_e32 v3, vcc, v4, v3, vcc
	v_lshlrev_b32_e32 v1, 5, v1
	v_add_co_u32_e32 v12, vcc, v2, v1
	v_addc_co_u32_e32 v13, vcc, 0, v3, vcc
	global_load_dwordx4 v[2:5], v[12:13], off
	global_load_dwordx4 v[6:9], v[12:13], off offset:16
	v_or_b32_e32 v10, s4, v0
	v_lshlrev_b64 v[16:17], 2, v[10:11]
	v_mov_b32_e32 v1, v11
	v_or_b32_e32 v0, 0x400, v10
	v_mov_b32_e32 v18, s3
	v_add_co_u32_e32 v16, vcc, s2, v16
	v_lshlrev_b64 v[0:1], 2, v[0:1]
	v_addc_co_u32_e32 v17, vcc, v18, v17, vcc
	v_mov_b32_e32 v13, v11
	v_or_b32_e32 v12, 0x500, v10
	v_mov_b32_e32 v19, s3
	v_add_co_u32_e32 v0, vcc, s2, v0
	v_lshlrev_b64 v[12:13], 2, v[12:13]
	v_addc_co_u32_e32 v1, vcc, v19, v1, vcc
	;; [unrolled: 6-line block ×3, first 2 shown]
	v_or_b32_e32 v10, 0x700, v10
	v_mov_b32_e32 v21, s3
	v_add_co_u32_e32 v14, vcc, s2, v14
	v_lshlrev_b64 v[10:11], 2, v[10:11]
	v_addc_co_u32_e32 v15, vcc, v21, v15, vcc
	v_mov_b32_e32 v22, s3
	v_add_co_u32_e32 v10, vcc, s2, v10
	v_addc_co_u32_e32 v11, vcc, v22, v11, vcc
	s_waitcnt vmcnt(1)
	global_store_dword v[16:17], v2, off
	global_store_dword v[16:17], v3, off offset:1024
	global_store_dword v[16:17], v4, off offset:2048
	;; [unrolled: 1-line block ×3, first 2 shown]
	s_waitcnt vmcnt(4)
	global_store_dword v[0:1], v6, off
	global_store_dword v[12:13], v7, off
	;; [unrolled: 1-line block ×4, first 2 shown]
	s_endpgm
	.section	.rodata,"a",@progbits
	.p2align	6, 0x0
	.amdhsa_kernel _Z16warp_load_kernelILj256ELj8ELj64ELN6hipcub17WarpLoadAlgorithmE0EiEvPT3_S3_
		.amdhsa_group_segment_fixed_size 0
		.amdhsa_private_segment_fixed_size 0
		.amdhsa_kernarg_size 16
		.amdhsa_user_sgpr_count 6
		.amdhsa_user_sgpr_private_segment_buffer 1
		.amdhsa_user_sgpr_dispatch_ptr 0
		.amdhsa_user_sgpr_queue_ptr 0
		.amdhsa_user_sgpr_kernarg_segment_ptr 1
		.amdhsa_user_sgpr_dispatch_id 0
		.amdhsa_user_sgpr_flat_scratch_init 0
		.amdhsa_user_sgpr_kernarg_preload_length 0
		.amdhsa_user_sgpr_kernarg_preload_offset 0
		.amdhsa_user_sgpr_private_segment_size 0
		.amdhsa_uses_dynamic_stack 0
		.amdhsa_system_sgpr_private_segment_wavefront_offset 0
		.amdhsa_system_sgpr_workgroup_id_x 1
		.amdhsa_system_sgpr_workgroup_id_y 0
		.amdhsa_system_sgpr_workgroup_id_z 0
		.amdhsa_system_sgpr_workgroup_info 0
		.amdhsa_system_vgpr_workitem_id 0
		.amdhsa_next_free_vgpr 23
		.amdhsa_next_free_sgpr 7
		.amdhsa_accum_offset 24
		.amdhsa_reserve_vcc 1
		.amdhsa_reserve_flat_scratch 0
		.amdhsa_float_round_mode_32 0
		.amdhsa_float_round_mode_16_64 0
		.amdhsa_float_denorm_mode_32 3
		.amdhsa_float_denorm_mode_16_64 3
		.amdhsa_dx10_clamp 1
		.amdhsa_ieee_mode 1
		.amdhsa_fp16_overflow 0
		.amdhsa_tg_split 0
		.amdhsa_exception_fp_ieee_invalid_op 0
		.amdhsa_exception_fp_denorm_src 0
		.amdhsa_exception_fp_ieee_div_zero 0
		.amdhsa_exception_fp_ieee_overflow 0
		.amdhsa_exception_fp_ieee_underflow 0
		.amdhsa_exception_fp_ieee_inexact 0
		.amdhsa_exception_int_div_zero 0
	.end_amdhsa_kernel
	.section	.text._Z16warp_load_kernelILj256ELj8ELj64ELN6hipcub17WarpLoadAlgorithmE0EiEvPT3_S3_,"axG",@progbits,_Z16warp_load_kernelILj256ELj8ELj64ELN6hipcub17WarpLoadAlgorithmE0EiEvPT3_S3_,comdat
.Lfunc_end41:
	.size	_Z16warp_load_kernelILj256ELj8ELj64ELN6hipcub17WarpLoadAlgorithmE0EiEvPT3_S3_, .Lfunc_end41-_Z16warp_load_kernelILj256ELj8ELj64ELN6hipcub17WarpLoadAlgorithmE0EiEvPT3_S3_
                                        ; -- End function
	.section	.AMDGPU.csdata,"",@progbits
; Kernel info:
; codeLenInByte = 324
; NumSgprs: 11
; NumVgprs: 23
; NumAgprs: 0
; TotalNumVgprs: 23
; ScratchSize: 0
; MemoryBound: 0
; FloatMode: 240
; IeeeMode: 1
; LDSByteSize: 0 bytes/workgroup (compile time only)
; SGPRBlocks: 1
; VGPRBlocks: 2
; NumSGPRsForWavesPerEU: 11
; NumVGPRsForWavesPerEU: 23
; AccumOffset: 24
; Occupancy: 8
; WaveLimiterHint : 1
; COMPUTE_PGM_RSRC2:SCRATCH_EN: 0
; COMPUTE_PGM_RSRC2:USER_SGPR: 6
; COMPUTE_PGM_RSRC2:TRAP_HANDLER: 0
; COMPUTE_PGM_RSRC2:TGID_X_EN: 1
; COMPUTE_PGM_RSRC2:TGID_Y_EN: 0
; COMPUTE_PGM_RSRC2:TGID_Z_EN: 0
; COMPUTE_PGM_RSRC2:TIDIG_COMP_CNT: 0
; COMPUTE_PGM_RSRC3_GFX90A:ACCUM_OFFSET: 5
; COMPUTE_PGM_RSRC3_GFX90A:TG_SPLIT: 0
	.section	.text._Z16warp_load_kernelILj256ELj8ELj64ELN6hipcub17WarpLoadAlgorithmE1EiEvPT3_S3_,"axG",@progbits,_Z16warp_load_kernelILj256ELj8ELj64ELN6hipcub17WarpLoadAlgorithmE1EiEvPT3_S3_,comdat
	.protected	_Z16warp_load_kernelILj256ELj8ELj64ELN6hipcub17WarpLoadAlgorithmE1EiEvPT3_S3_ ; -- Begin function _Z16warp_load_kernelILj256ELj8ELj64ELN6hipcub17WarpLoadAlgorithmE1EiEvPT3_S3_
	.globl	_Z16warp_load_kernelILj256ELj8ELj64ELN6hipcub17WarpLoadAlgorithmE1EiEvPT3_S3_
	.p2align	8
	.type	_Z16warp_load_kernelILj256ELj8ELj64ELN6hipcub17WarpLoadAlgorithmE1EiEvPT3_S3_,@function
_Z16warp_load_kernelILj256ELj8ELj64ELN6hipcub17WarpLoadAlgorithmE1EiEvPT3_S3_: ; @_Z16warp_load_kernelILj256ELj8ELj64ELN6hipcub17WarpLoadAlgorithmE1EiEvPT3_S3_
; %bb.0:
	s_load_dwordx4 s[0:3], s[4:5], 0x0
	v_lshlrev_b32_e32 v2, 3, v0
	s_lshl_b32 s4, s6, 11
	v_and_b32_e32 v2, 0x600, v2
	v_or_b32_e32 v2, s4, v2
	v_mov_b32_e32 v3, 0
	v_mbcnt_lo_u32_b32 v1, -1, 0
	v_lshlrev_b64 v[4:5], 2, v[2:3]
	v_mbcnt_hi_u32_b32 v1, -1, v1
	s_waitcnt lgkmcnt(0)
	v_mov_b32_e32 v2, s1
	v_add_co_u32_e32 v4, vcc, s0, v4
	v_addc_co_u32_e32 v2, vcc, v2, v5, vcc
	v_lshlrev_b32_e32 v5, 2, v1
	v_add_co_u32_e32 v4, vcc, v4, v5
	v_lshlrev_b32_e32 v1, 5, v1
	v_addc_co_u32_e32 v2, vcc, 0, v2, vcc
	v_and_b32_e32 v1, 0x800, v1
	v_add_co_u32_e32 v4, vcc, v4, v1
	v_addc_co_u32_e32 v5, vcc, 0, v2, vcc
	global_load_dword v10, v[4:5], off
	global_load_dword v11, v[4:5], off offset:256
	global_load_dword v12, v[4:5], off offset:512
	;; [unrolled: 1-line block ×7, first 2 shown]
	v_or_b32_e32 v2, s4, v0
	v_lshlrev_b64 v[8:9], 2, v[2:3]
	v_mov_b32_e32 v1, v3
	v_or_b32_e32 v0, 0x400, v2
	v_mov_b32_e32 v18, s3
	v_add_co_u32_e32 v8, vcc, s2, v8
	v_lshlrev_b64 v[0:1], 2, v[0:1]
	v_addc_co_u32_e32 v9, vcc, v18, v9, vcc
	v_mov_b32_e32 v5, v3
	v_or_b32_e32 v4, 0x500, v2
	v_mov_b32_e32 v19, s3
	v_add_co_u32_e32 v0, vcc, s2, v0
	v_lshlrev_b64 v[4:5], 2, v[4:5]
	v_addc_co_u32_e32 v1, vcc, v19, v1, vcc
	;; [unrolled: 6-line block ×3, first 2 shown]
	v_or_b32_e32 v2, 0x700, v2
	v_mov_b32_e32 v21, s3
	v_add_co_u32_e32 v6, vcc, s2, v6
	v_lshlrev_b64 v[2:3], 2, v[2:3]
	v_addc_co_u32_e32 v7, vcc, v21, v7, vcc
	v_mov_b32_e32 v22, s3
	v_add_co_u32_e32 v2, vcc, s2, v2
	v_addc_co_u32_e32 v3, vcc, v22, v3, vcc
	s_waitcnt vmcnt(7)
	global_store_dword v[8:9], v10, off
	s_waitcnt vmcnt(7)
	global_store_dword v[8:9], v11, off offset:1024
	s_waitcnt vmcnt(7)
	global_store_dword v[8:9], v12, off offset:2048
	;; [unrolled: 2-line block ×3, first 2 shown]
	s_waitcnt vmcnt(7)
	global_store_dword v[0:1], v14, off
	s_waitcnt vmcnt(7)
	global_store_dword v[4:5], v15, off
	;; [unrolled: 2-line block ×4, first 2 shown]
	s_endpgm
	.section	.rodata,"a",@progbits
	.p2align	6, 0x0
	.amdhsa_kernel _Z16warp_load_kernelILj256ELj8ELj64ELN6hipcub17WarpLoadAlgorithmE1EiEvPT3_S3_
		.amdhsa_group_segment_fixed_size 0
		.amdhsa_private_segment_fixed_size 0
		.amdhsa_kernarg_size 16
		.amdhsa_user_sgpr_count 6
		.amdhsa_user_sgpr_private_segment_buffer 1
		.amdhsa_user_sgpr_dispatch_ptr 0
		.amdhsa_user_sgpr_queue_ptr 0
		.amdhsa_user_sgpr_kernarg_segment_ptr 1
		.amdhsa_user_sgpr_dispatch_id 0
		.amdhsa_user_sgpr_flat_scratch_init 0
		.amdhsa_user_sgpr_kernarg_preload_length 0
		.amdhsa_user_sgpr_kernarg_preload_offset 0
		.amdhsa_user_sgpr_private_segment_size 0
		.amdhsa_uses_dynamic_stack 0
		.amdhsa_system_sgpr_private_segment_wavefront_offset 0
		.amdhsa_system_sgpr_workgroup_id_x 1
		.amdhsa_system_sgpr_workgroup_id_y 0
		.amdhsa_system_sgpr_workgroup_id_z 0
		.amdhsa_system_sgpr_workgroup_info 0
		.amdhsa_system_vgpr_workitem_id 0
		.amdhsa_next_free_vgpr 23
		.amdhsa_next_free_sgpr 7
		.amdhsa_accum_offset 24
		.amdhsa_reserve_vcc 1
		.amdhsa_reserve_flat_scratch 0
		.amdhsa_float_round_mode_32 0
		.amdhsa_float_round_mode_16_64 0
		.amdhsa_float_denorm_mode_32 3
		.amdhsa_float_denorm_mode_16_64 3
		.amdhsa_dx10_clamp 1
		.amdhsa_ieee_mode 1
		.amdhsa_fp16_overflow 0
		.amdhsa_tg_split 0
		.amdhsa_exception_fp_ieee_invalid_op 0
		.amdhsa_exception_fp_denorm_src 0
		.amdhsa_exception_fp_ieee_div_zero 0
		.amdhsa_exception_fp_ieee_overflow 0
		.amdhsa_exception_fp_ieee_underflow 0
		.amdhsa_exception_fp_ieee_inexact 0
		.amdhsa_exception_int_div_zero 0
	.end_amdhsa_kernel
	.section	.text._Z16warp_load_kernelILj256ELj8ELj64ELN6hipcub17WarpLoadAlgorithmE1EiEvPT3_S3_,"axG",@progbits,_Z16warp_load_kernelILj256ELj8ELj64ELN6hipcub17WarpLoadAlgorithmE1EiEvPT3_S3_,comdat
.Lfunc_end42:
	.size	_Z16warp_load_kernelILj256ELj8ELj64ELN6hipcub17WarpLoadAlgorithmE1EiEvPT3_S3_, .Lfunc_end42-_Z16warp_load_kernelILj256ELj8ELj64ELN6hipcub17WarpLoadAlgorithmE1EiEvPT3_S3_
                                        ; -- End function
	.section	.AMDGPU.csdata,"",@progbits
; Kernel info:
; codeLenInByte = 416
; NumSgprs: 11
; NumVgprs: 23
; NumAgprs: 0
; TotalNumVgprs: 23
; ScratchSize: 0
; MemoryBound: 0
; FloatMode: 240
; IeeeMode: 1
; LDSByteSize: 0 bytes/workgroup (compile time only)
; SGPRBlocks: 1
; VGPRBlocks: 2
; NumSGPRsForWavesPerEU: 11
; NumVGPRsForWavesPerEU: 23
; AccumOffset: 24
; Occupancy: 8
; WaveLimiterHint : 1
; COMPUTE_PGM_RSRC2:SCRATCH_EN: 0
; COMPUTE_PGM_RSRC2:USER_SGPR: 6
; COMPUTE_PGM_RSRC2:TRAP_HANDLER: 0
; COMPUTE_PGM_RSRC2:TGID_X_EN: 1
; COMPUTE_PGM_RSRC2:TGID_Y_EN: 0
; COMPUTE_PGM_RSRC2:TGID_Z_EN: 0
; COMPUTE_PGM_RSRC2:TIDIG_COMP_CNT: 0
; COMPUTE_PGM_RSRC3_GFX90A:ACCUM_OFFSET: 5
; COMPUTE_PGM_RSRC3_GFX90A:TG_SPLIT: 0
	.section	.text._Z16warp_load_kernelILj256ELj8ELj64ELN6hipcub17WarpLoadAlgorithmE2EiEvPT3_S3_,"axG",@progbits,_Z16warp_load_kernelILj256ELj8ELj64ELN6hipcub17WarpLoadAlgorithmE2EiEvPT3_S3_,comdat
	.protected	_Z16warp_load_kernelILj256ELj8ELj64ELN6hipcub17WarpLoadAlgorithmE2EiEvPT3_S3_ ; -- Begin function _Z16warp_load_kernelILj256ELj8ELj64ELN6hipcub17WarpLoadAlgorithmE2EiEvPT3_S3_
	.globl	_Z16warp_load_kernelILj256ELj8ELj64ELN6hipcub17WarpLoadAlgorithmE2EiEvPT3_S3_
	.p2align	8
	.type	_Z16warp_load_kernelILj256ELj8ELj64ELN6hipcub17WarpLoadAlgorithmE2EiEvPT3_S3_,@function
_Z16warp_load_kernelILj256ELj8ELj64ELN6hipcub17WarpLoadAlgorithmE2EiEvPT3_S3_: ; @_Z16warp_load_kernelILj256ELj8ELj64ELN6hipcub17WarpLoadAlgorithmE2EiEvPT3_S3_
; %bb.0:
	s_load_dwordx4 s[0:3], s[4:5], 0x0
	v_lshlrev_b32_e32 v2, 3, v0
	s_lshl_b32 s4, s6, 11
	v_and_b32_e32 v2, 0x600, v2
	v_or_b32_e32 v10, s4, v2
	v_mov_b32_e32 v11, 0
	v_mbcnt_lo_u32_b32 v1, -1, 0
	v_lshlrev_b64 v[2:3], 2, v[10:11]
	v_mbcnt_hi_u32_b32 v1, -1, v1
	s_waitcnt lgkmcnt(0)
	v_mov_b32_e32 v4, s1
	v_add_co_u32_e32 v2, vcc, s0, v2
	v_addc_co_u32_e32 v3, vcc, v4, v3, vcc
	v_lshlrev_b32_e32 v1, 5, v1
	v_add_co_u32_e32 v12, vcc, v2, v1
	v_addc_co_u32_e32 v13, vcc, 0, v3, vcc
	global_load_dwordx4 v[2:5], v[12:13], off
	global_load_dwordx4 v[6:9], v[12:13], off offset:16
	v_or_b32_e32 v10, s4, v0
	v_lshlrev_b64 v[16:17], 2, v[10:11]
	v_mov_b32_e32 v1, v11
	v_or_b32_e32 v0, 0x400, v10
	v_mov_b32_e32 v18, s3
	v_add_co_u32_e32 v16, vcc, s2, v16
	v_lshlrev_b64 v[0:1], 2, v[0:1]
	v_addc_co_u32_e32 v17, vcc, v18, v17, vcc
	v_mov_b32_e32 v13, v11
	v_or_b32_e32 v12, 0x500, v10
	v_mov_b32_e32 v19, s3
	v_add_co_u32_e32 v0, vcc, s2, v0
	v_lshlrev_b64 v[12:13], 2, v[12:13]
	v_addc_co_u32_e32 v1, vcc, v19, v1, vcc
	;; [unrolled: 6-line block ×3, first 2 shown]
	v_or_b32_e32 v10, 0x700, v10
	v_mov_b32_e32 v21, s3
	v_add_co_u32_e32 v14, vcc, s2, v14
	v_lshlrev_b64 v[10:11], 2, v[10:11]
	v_addc_co_u32_e32 v15, vcc, v21, v15, vcc
	v_mov_b32_e32 v22, s3
	v_add_co_u32_e32 v10, vcc, s2, v10
	v_addc_co_u32_e32 v11, vcc, v22, v11, vcc
	s_waitcnt vmcnt(1)
	global_store_dword v[16:17], v2, off
	global_store_dword v[16:17], v3, off offset:1024
	global_store_dword v[16:17], v4, off offset:2048
	;; [unrolled: 1-line block ×3, first 2 shown]
	s_waitcnt vmcnt(4)
	global_store_dword v[0:1], v6, off
	global_store_dword v[12:13], v7, off
	;; [unrolled: 1-line block ×4, first 2 shown]
	s_endpgm
	.section	.rodata,"a",@progbits
	.p2align	6, 0x0
	.amdhsa_kernel _Z16warp_load_kernelILj256ELj8ELj64ELN6hipcub17WarpLoadAlgorithmE2EiEvPT3_S3_
		.amdhsa_group_segment_fixed_size 0
		.amdhsa_private_segment_fixed_size 0
		.amdhsa_kernarg_size 16
		.amdhsa_user_sgpr_count 6
		.amdhsa_user_sgpr_private_segment_buffer 1
		.amdhsa_user_sgpr_dispatch_ptr 0
		.amdhsa_user_sgpr_queue_ptr 0
		.amdhsa_user_sgpr_kernarg_segment_ptr 1
		.amdhsa_user_sgpr_dispatch_id 0
		.amdhsa_user_sgpr_flat_scratch_init 0
		.amdhsa_user_sgpr_kernarg_preload_length 0
		.amdhsa_user_sgpr_kernarg_preload_offset 0
		.amdhsa_user_sgpr_private_segment_size 0
		.amdhsa_uses_dynamic_stack 0
		.amdhsa_system_sgpr_private_segment_wavefront_offset 0
		.amdhsa_system_sgpr_workgroup_id_x 1
		.amdhsa_system_sgpr_workgroup_id_y 0
		.amdhsa_system_sgpr_workgroup_id_z 0
		.amdhsa_system_sgpr_workgroup_info 0
		.amdhsa_system_vgpr_workitem_id 0
		.amdhsa_next_free_vgpr 23
		.amdhsa_next_free_sgpr 7
		.amdhsa_accum_offset 24
		.amdhsa_reserve_vcc 1
		.amdhsa_reserve_flat_scratch 0
		.amdhsa_float_round_mode_32 0
		.amdhsa_float_round_mode_16_64 0
		.amdhsa_float_denorm_mode_32 3
		.amdhsa_float_denorm_mode_16_64 3
		.amdhsa_dx10_clamp 1
		.amdhsa_ieee_mode 1
		.amdhsa_fp16_overflow 0
		.amdhsa_tg_split 0
		.amdhsa_exception_fp_ieee_invalid_op 0
		.amdhsa_exception_fp_denorm_src 0
		.amdhsa_exception_fp_ieee_div_zero 0
		.amdhsa_exception_fp_ieee_overflow 0
		.amdhsa_exception_fp_ieee_underflow 0
		.amdhsa_exception_fp_ieee_inexact 0
		.amdhsa_exception_int_div_zero 0
	.end_amdhsa_kernel
	.section	.text._Z16warp_load_kernelILj256ELj8ELj64ELN6hipcub17WarpLoadAlgorithmE2EiEvPT3_S3_,"axG",@progbits,_Z16warp_load_kernelILj256ELj8ELj64ELN6hipcub17WarpLoadAlgorithmE2EiEvPT3_S3_,comdat
.Lfunc_end43:
	.size	_Z16warp_load_kernelILj256ELj8ELj64ELN6hipcub17WarpLoadAlgorithmE2EiEvPT3_S3_, .Lfunc_end43-_Z16warp_load_kernelILj256ELj8ELj64ELN6hipcub17WarpLoadAlgorithmE2EiEvPT3_S3_
                                        ; -- End function
	.section	.AMDGPU.csdata,"",@progbits
; Kernel info:
; codeLenInByte = 324
; NumSgprs: 11
; NumVgprs: 23
; NumAgprs: 0
; TotalNumVgprs: 23
; ScratchSize: 0
; MemoryBound: 0
; FloatMode: 240
; IeeeMode: 1
; LDSByteSize: 0 bytes/workgroup (compile time only)
; SGPRBlocks: 1
; VGPRBlocks: 2
; NumSGPRsForWavesPerEU: 11
; NumVGPRsForWavesPerEU: 23
; AccumOffset: 24
; Occupancy: 8
; WaveLimiterHint : 1
; COMPUTE_PGM_RSRC2:SCRATCH_EN: 0
; COMPUTE_PGM_RSRC2:USER_SGPR: 6
; COMPUTE_PGM_RSRC2:TRAP_HANDLER: 0
; COMPUTE_PGM_RSRC2:TGID_X_EN: 1
; COMPUTE_PGM_RSRC2:TGID_Y_EN: 0
; COMPUTE_PGM_RSRC2:TGID_Z_EN: 0
; COMPUTE_PGM_RSRC2:TIDIG_COMP_CNT: 0
; COMPUTE_PGM_RSRC3_GFX90A:ACCUM_OFFSET: 5
; COMPUTE_PGM_RSRC3_GFX90A:TG_SPLIT: 0
	.section	.text._Z16warp_load_kernelILj256ELj8ELj64ELN6hipcub17WarpLoadAlgorithmE3EiEvPT3_S3_,"axG",@progbits,_Z16warp_load_kernelILj256ELj8ELj64ELN6hipcub17WarpLoadAlgorithmE3EiEvPT3_S3_,comdat
	.protected	_Z16warp_load_kernelILj256ELj8ELj64ELN6hipcub17WarpLoadAlgorithmE3EiEvPT3_S3_ ; -- Begin function _Z16warp_load_kernelILj256ELj8ELj64ELN6hipcub17WarpLoadAlgorithmE3EiEvPT3_S3_
	.globl	_Z16warp_load_kernelILj256ELj8ELj64ELN6hipcub17WarpLoadAlgorithmE3EiEvPT3_S3_
	.p2align	8
	.type	_Z16warp_load_kernelILj256ELj8ELj64ELN6hipcub17WarpLoadAlgorithmE3EiEvPT3_S3_,@function
_Z16warp_load_kernelILj256ELj8ELj64ELN6hipcub17WarpLoadAlgorithmE3EiEvPT3_S3_: ; @_Z16warp_load_kernelILj256ELj8ELj64ELN6hipcub17WarpLoadAlgorithmE3EiEvPT3_S3_
; %bb.0:
	s_load_dwordx4 s[0:3], s[4:5], 0x0
	v_lshrrev_b32_e32 v6, 6, v0
	s_lshl_b32 s4, s6, 11
	v_lshl_or_b32 v2, v6, 9, s4
	v_mov_b32_e32 v3, 0
	v_mbcnt_lo_u32_b32 v1, -1, 0
	v_lshlrev_b64 v[4:5], 2, v[2:3]
	v_mbcnt_hi_u32_b32 v1, -1, v1
	s_waitcnt lgkmcnt(0)
	v_mov_b32_e32 v2, s1
	v_add_co_u32_e32 v4, vcc, s0, v4
	v_addc_co_u32_e32 v2, vcc, v2, v5, vcc
	v_lshlrev_b32_e32 v8, 2, v1
	v_add_co_u32_e32 v4, vcc, v4, v8
	v_lshlrev_b32_e32 v9, 5, v1
	v_addc_co_u32_e32 v2, vcc, 0, v2, vcc
	v_and_b32_e32 v1, 0x800, v9
	v_add_co_u32_e32 v4, vcc, v4, v1
	v_addc_co_u32_e32 v5, vcc, 0, v2, vcc
	global_load_dword v18, v[4:5], off
	global_load_dword v19, v[4:5], off offset:256
	global_load_dword v20, v[4:5], off offset:512
	;; [unrolled: 1-line block ×7, first 2 shown]
	v_lshlrev_b32_e32 v2, 11, v6
	v_or_b32_e32 v26, v2, v8
	v_add_u32_e32 v27, v2, v9
	v_or_b32_e32 v2, s4, v0
	v_lshlrev_b64 v[8:9], 2, v[2:3]
	v_or_b32_e32 v0, 0x400, v2
	v_or_b32_e32 v4, 0x500, v2
	v_or_b32_e32 v6, 0x600, v2
	v_or_b32_e32 v2, 0x700, v2
	v_mov_b32_e32 v1, v3
	v_lshlrev_b64 v[10:11], 2, v[2:3]
	v_mov_b32_e32 v2, s3
	v_add_co_u32_e32 v8, vcc, s2, v8
	v_lshlrev_b64 v[0:1], 2, v[0:1]
	v_addc_co_u32_e32 v9, vcc, v2, v9, vcc
	v_mov_b32_e32 v5, v3
	v_mov_b32_e32 v7, v3
	;; [unrolled: 1-line block ×3, first 2 shown]
	v_add_co_u32_e32 v12, vcc, s2, v0
	v_lshlrev_b64 v[4:5], 2, v[4:5]
	v_addc_co_u32_e32 v13, vcc, v3, v1, vcc
	v_mov_b32_e32 v15, s3
	v_add_co_u32_e32 v14, vcc, s2, v4
	v_lshlrev_b64 v[6:7], 2, v[6:7]
	v_addc_co_u32_e32 v15, vcc, v15, v5, vcc
	v_mov_b32_e32 v17, s3
	v_add_co_u32_e32 v16, vcc, s2, v6
	v_addc_co_u32_e32 v17, vcc, v17, v7, vcc
	v_mov_b32_e32 v28, s3
	v_add_co_u32_e32 v10, vcc, s2, v10
	v_addc_co_u32_e32 v11, vcc, v28, v11, vcc
	s_waitcnt vmcnt(6)
	ds_write2st64_b32 v26, v18, v19 offset1:1
	s_waitcnt vmcnt(4)
	ds_write2st64_b32 v26, v20, v21 offset0:2 offset1:3
	s_waitcnt vmcnt(2)
	ds_write2st64_b32 v26, v22, v23 offset0:4 offset1:5
	;; [unrolled: 2-line block ×3, first 2 shown]
	; wave barrier
	ds_read_b128 v[0:3], v27
	ds_read_b128 v[4:7], v27 offset:16
	s_waitcnt lgkmcnt(1)
	global_store_dword v[8:9], v0, off
	global_store_dword v[8:9], v1, off offset:1024
	global_store_dword v[8:9], v2, off offset:2048
	;; [unrolled: 1-line block ×3, first 2 shown]
	s_waitcnt lgkmcnt(0)
	global_store_dword v[12:13], v4, off
	global_store_dword v[14:15], v5, off
	;; [unrolled: 1-line block ×4, first 2 shown]
	s_endpgm
	.section	.rodata,"a",@progbits
	.p2align	6, 0x0
	.amdhsa_kernel _Z16warp_load_kernelILj256ELj8ELj64ELN6hipcub17WarpLoadAlgorithmE3EiEvPT3_S3_
		.amdhsa_group_segment_fixed_size 8192
		.amdhsa_private_segment_fixed_size 0
		.amdhsa_kernarg_size 16
		.amdhsa_user_sgpr_count 6
		.amdhsa_user_sgpr_private_segment_buffer 1
		.amdhsa_user_sgpr_dispatch_ptr 0
		.amdhsa_user_sgpr_queue_ptr 0
		.amdhsa_user_sgpr_kernarg_segment_ptr 1
		.amdhsa_user_sgpr_dispatch_id 0
		.amdhsa_user_sgpr_flat_scratch_init 0
		.amdhsa_user_sgpr_kernarg_preload_length 0
		.amdhsa_user_sgpr_kernarg_preload_offset 0
		.amdhsa_user_sgpr_private_segment_size 0
		.amdhsa_uses_dynamic_stack 0
		.amdhsa_system_sgpr_private_segment_wavefront_offset 0
		.amdhsa_system_sgpr_workgroup_id_x 1
		.amdhsa_system_sgpr_workgroup_id_y 0
		.amdhsa_system_sgpr_workgroup_id_z 0
		.amdhsa_system_sgpr_workgroup_info 0
		.amdhsa_system_vgpr_workitem_id 0
		.amdhsa_next_free_vgpr 29
		.amdhsa_next_free_sgpr 7
		.amdhsa_accum_offset 32
		.amdhsa_reserve_vcc 1
		.amdhsa_reserve_flat_scratch 0
		.amdhsa_float_round_mode_32 0
		.amdhsa_float_round_mode_16_64 0
		.amdhsa_float_denorm_mode_32 3
		.amdhsa_float_denorm_mode_16_64 3
		.amdhsa_dx10_clamp 1
		.amdhsa_ieee_mode 1
		.amdhsa_fp16_overflow 0
		.amdhsa_tg_split 0
		.amdhsa_exception_fp_ieee_invalid_op 0
		.amdhsa_exception_fp_denorm_src 0
		.amdhsa_exception_fp_ieee_div_zero 0
		.amdhsa_exception_fp_ieee_overflow 0
		.amdhsa_exception_fp_ieee_underflow 0
		.amdhsa_exception_fp_ieee_inexact 0
		.amdhsa_exception_int_div_zero 0
	.end_amdhsa_kernel
	.section	.text._Z16warp_load_kernelILj256ELj8ELj64ELN6hipcub17WarpLoadAlgorithmE3EiEvPT3_S3_,"axG",@progbits,_Z16warp_load_kernelILj256ELj8ELj64ELN6hipcub17WarpLoadAlgorithmE3EiEvPT3_S3_,comdat
.Lfunc_end44:
	.size	_Z16warp_load_kernelILj256ELj8ELj64ELN6hipcub17WarpLoadAlgorithmE3EiEvPT3_S3_, .Lfunc_end44-_Z16warp_load_kernelILj256ELj8ELj64ELN6hipcub17WarpLoadAlgorithmE3EiEvPT3_S3_
                                        ; -- End function
	.section	.AMDGPU.csdata,"",@progbits
; Kernel info:
; codeLenInByte = 464
; NumSgprs: 11
; NumVgprs: 29
; NumAgprs: 0
; TotalNumVgprs: 29
; ScratchSize: 0
; MemoryBound: 0
; FloatMode: 240
; IeeeMode: 1
; LDSByteSize: 8192 bytes/workgroup (compile time only)
; SGPRBlocks: 1
; VGPRBlocks: 3
; NumSGPRsForWavesPerEU: 11
; NumVGPRsForWavesPerEU: 29
; AccumOffset: 32
; Occupancy: 8
; WaveLimiterHint : 1
; COMPUTE_PGM_RSRC2:SCRATCH_EN: 0
; COMPUTE_PGM_RSRC2:USER_SGPR: 6
; COMPUTE_PGM_RSRC2:TRAP_HANDLER: 0
; COMPUTE_PGM_RSRC2:TGID_X_EN: 1
; COMPUTE_PGM_RSRC2:TGID_Y_EN: 0
; COMPUTE_PGM_RSRC2:TGID_Z_EN: 0
; COMPUTE_PGM_RSRC2:TIDIG_COMP_CNT: 0
; COMPUTE_PGM_RSRC3_GFX90A:ACCUM_OFFSET: 7
; COMPUTE_PGM_RSRC3_GFX90A:TG_SPLIT: 0
	.section	.text._Z16warp_load_kernelILj256ELj16ELj64ELN6hipcub17WarpLoadAlgorithmE0EiEvPT3_S3_,"axG",@progbits,_Z16warp_load_kernelILj256ELj16ELj64ELN6hipcub17WarpLoadAlgorithmE0EiEvPT3_S3_,comdat
	.protected	_Z16warp_load_kernelILj256ELj16ELj64ELN6hipcub17WarpLoadAlgorithmE0EiEvPT3_S3_ ; -- Begin function _Z16warp_load_kernelILj256ELj16ELj64ELN6hipcub17WarpLoadAlgorithmE0EiEvPT3_S3_
	.globl	_Z16warp_load_kernelILj256ELj16ELj64ELN6hipcub17WarpLoadAlgorithmE0EiEvPT3_S3_
	.p2align	8
	.type	_Z16warp_load_kernelILj256ELj16ELj64ELN6hipcub17WarpLoadAlgorithmE0EiEvPT3_S3_,@function
_Z16warp_load_kernelILj256ELj16ELj64ELN6hipcub17WarpLoadAlgorithmE0EiEvPT3_S3_: ; @_Z16warp_load_kernelILj256ELj16ELj64ELN6hipcub17WarpLoadAlgorithmE0EiEvPT3_S3_
; %bb.0:
	s_load_dwordx4 s[0:3], s[4:5], 0x0
	v_lshlrev_b32_e32 v2, 4, v0
	s_lshl_b32 s4, s6, 12
	v_and_b32_e32 v2, 0xc00, v2
	v_or_b32_e32 v18, s4, v2
	v_mov_b32_e32 v19, 0
	v_mbcnt_lo_u32_b32 v1, -1, 0
	v_lshlrev_b64 v[2:3], 2, v[18:19]
	v_mbcnt_hi_u32_b32 v1, -1, v1
	s_waitcnt lgkmcnt(0)
	v_mov_b32_e32 v4, s1
	v_add_co_u32_e32 v2, vcc, s0, v2
	v_addc_co_u32_e32 v3, vcc, v4, v3, vcc
	v_lshlrev_b32_e32 v1, 6, v1
	v_add_co_u32_e32 v20, vcc, v2, v1
	v_addc_co_u32_e32 v21, vcc, 0, v3, vcc
	global_load_dwordx4 v[2:5], v[20:21], off
	global_load_dwordx4 v[6:9], v[20:21], off offset:16
	global_load_dwordx4 v[10:13], v[20:21], off offset:32
	;; [unrolled: 1-line block ×3, first 2 shown]
	v_or_b32_e32 v18, s4, v0
	v_lshlrev_b64 v[30:31], 2, v[18:19]
	v_mov_b32_e32 v1, v19
	v_or_b32_e32 v0, 0x400, v18
	v_mov_b32_e32 v32, s3
	v_add_co_u32_e32 v30, vcc, s2, v30
	v_lshlrev_b64 v[0:1], 2, v[0:1]
	v_addc_co_u32_e32 v31, vcc, v32, v31, vcc
	v_mov_b32_e32 v21, v19
	v_or_b32_e32 v20, 0x500, v18
	v_mov_b32_e32 v33, s3
	v_add_co_u32_e32 v0, vcc, s2, v0
	v_lshlrev_b64 v[20:21], 2, v[20:21]
	v_addc_co_u32_e32 v1, vcc, v33, v1, vcc
	;; [unrolled: 6-line block ×6, first 2 shown]
	v_mov_b32_e32 v38, s3
	v_add_co_u32_e32 v28, vcc, s2, v28
	v_addc_co_u32_e32 v29, vcc, v38, v29, vcc
	s_waitcnt vmcnt(3)
	global_store_dword v[30:31], v2, off
	global_store_dword v[30:31], v3, off offset:1024
	global_store_dword v[30:31], v4, off offset:2048
	;; [unrolled: 1-line block ×3, first 2 shown]
	s_waitcnt vmcnt(6)
	global_store_dword v[0:1], v6, off
	global_store_dword v[20:21], v7, off
	;; [unrolled: 1-line block ×4, first 2 shown]
	s_waitcnt vmcnt(9)
	global_store_dword v[26:27], v10, off
	global_store_dword v[28:29], v11, off
	v_or_b32_e32 v0, 0xa00, v18
	v_mov_b32_e32 v1, v19
	v_lshlrev_b64 v[0:1], 2, v[0:1]
	v_mov_b32_e32 v2, s3
	v_add_co_u32_e32 v0, vcc, s2, v0
	v_addc_co_u32_e32 v1, vcc, v2, v1, vcc
	global_store_dword v[0:1], v12, off
	v_or_b32_e32 v0, 0xb00, v18
	v_mov_b32_e32 v1, v19
	v_lshlrev_b64 v[0:1], 2, v[0:1]
	v_add_co_u32_e32 v0, vcc, s2, v0
	v_addc_co_u32_e32 v1, vcc, v2, v1, vcc
	global_store_dword v[0:1], v13, off
	v_or_b32_e32 v0, 0xc00, v18
	v_mov_b32_e32 v1, v19
	v_lshlrev_b64 v[0:1], 2, v[0:1]
	v_add_co_u32_e32 v0, vcc, s2, v0
	v_addc_co_u32_e32 v1, vcc, v2, v1, vcc
	s_waitcnt vmcnt(12)
	global_store_dword v[0:1], v14, off
	v_or_b32_e32 v0, 0xd00, v18
	v_mov_b32_e32 v1, v19
	v_lshlrev_b64 v[0:1], 2, v[0:1]
	v_add_co_u32_e32 v0, vcc, s2, v0
	v_addc_co_u32_e32 v1, vcc, v2, v1, vcc
	global_store_dword v[0:1], v15, off
	v_or_b32_e32 v0, 0xe00, v18
	v_mov_b32_e32 v1, v19
	v_lshlrev_b64 v[0:1], 2, v[0:1]
	v_add_co_u32_e32 v0, vcc, s2, v0
	v_addc_co_u32_e32 v1, vcc, v2, v1, vcc
	v_or_b32_e32 v18, 0xf00, v18
	global_store_dword v[0:1], v16, off
	v_lshlrev_b64 v[0:1], 2, v[18:19]
	v_add_co_u32_e32 v0, vcc, s2, v0
	v_addc_co_u32_e32 v1, vcc, v2, v1, vcc
	global_store_dword v[0:1], v17, off
	s_endpgm
	.section	.rodata,"a",@progbits
	.p2align	6, 0x0
	.amdhsa_kernel _Z16warp_load_kernelILj256ELj16ELj64ELN6hipcub17WarpLoadAlgorithmE0EiEvPT3_S3_
		.amdhsa_group_segment_fixed_size 0
		.amdhsa_private_segment_fixed_size 0
		.amdhsa_kernarg_size 16
		.amdhsa_user_sgpr_count 6
		.amdhsa_user_sgpr_private_segment_buffer 1
		.amdhsa_user_sgpr_dispatch_ptr 0
		.amdhsa_user_sgpr_queue_ptr 0
		.amdhsa_user_sgpr_kernarg_segment_ptr 1
		.amdhsa_user_sgpr_dispatch_id 0
		.amdhsa_user_sgpr_flat_scratch_init 0
		.amdhsa_user_sgpr_kernarg_preload_length 0
		.amdhsa_user_sgpr_kernarg_preload_offset 0
		.amdhsa_user_sgpr_private_segment_size 0
		.amdhsa_uses_dynamic_stack 0
		.amdhsa_system_sgpr_private_segment_wavefront_offset 0
		.amdhsa_system_sgpr_workgroup_id_x 1
		.amdhsa_system_sgpr_workgroup_id_y 0
		.amdhsa_system_sgpr_workgroup_id_z 0
		.amdhsa_system_sgpr_workgroup_info 0
		.amdhsa_system_vgpr_workitem_id 0
		.amdhsa_next_free_vgpr 39
		.amdhsa_next_free_sgpr 7
		.amdhsa_accum_offset 40
		.amdhsa_reserve_vcc 1
		.amdhsa_reserve_flat_scratch 0
		.amdhsa_float_round_mode_32 0
		.amdhsa_float_round_mode_16_64 0
		.amdhsa_float_denorm_mode_32 3
		.amdhsa_float_denorm_mode_16_64 3
		.amdhsa_dx10_clamp 1
		.amdhsa_ieee_mode 1
		.amdhsa_fp16_overflow 0
		.amdhsa_tg_split 0
		.amdhsa_exception_fp_ieee_invalid_op 0
		.amdhsa_exception_fp_denorm_src 0
		.amdhsa_exception_fp_ieee_div_zero 0
		.amdhsa_exception_fp_ieee_overflow 0
		.amdhsa_exception_fp_ieee_underflow 0
		.amdhsa_exception_fp_ieee_inexact 0
		.amdhsa_exception_int_div_zero 0
	.end_amdhsa_kernel
	.section	.text._Z16warp_load_kernelILj256ELj16ELj64ELN6hipcub17WarpLoadAlgorithmE0EiEvPT3_S3_,"axG",@progbits,_Z16warp_load_kernelILj256ELj16ELj64ELN6hipcub17WarpLoadAlgorithmE0EiEvPT3_S3_,comdat
.Lfunc_end45:
	.size	_Z16warp_load_kernelILj256ELj16ELj64ELN6hipcub17WarpLoadAlgorithmE0EiEvPT3_S3_, .Lfunc_end45-_Z16warp_load_kernelILj256ELj16ELj64ELN6hipcub17WarpLoadAlgorithmE0EiEvPT3_S3_
                                        ; -- End function
	.section	.AMDGPU.csdata,"",@progbits
; Kernel info:
; codeLenInByte = 648
; NumSgprs: 11
; NumVgprs: 39
; NumAgprs: 0
; TotalNumVgprs: 39
; ScratchSize: 0
; MemoryBound: 0
; FloatMode: 240
; IeeeMode: 1
; LDSByteSize: 0 bytes/workgroup (compile time only)
; SGPRBlocks: 1
; VGPRBlocks: 4
; NumSGPRsForWavesPerEU: 11
; NumVGPRsForWavesPerEU: 39
; AccumOffset: 40
; Occupancy: 8
; WaveLimiterHint : 1
; COMPUTE_PGM_RSRC2:SCRATCH_EN: 0
; COMPUTE_PGM_RSRC2:USER_SGPR: 6
; COMPUTE_PGM_RSRC2:TRAP_HANDLER: 0
; COMPUTE_PGM_RSRC2:TGID_X_EN: 1
; COMPUTE_PGM_RSRC2:TGID_Y_EN: 0
; COMPUTE_PGM_RSRC2:TGID_Z_EN: 0
; COMPUTE_PGM_RSRC2:TIDIG_COMP_CNT: 0
; COMPUTE_PGM_RSRC3_GFX90A:ACCUM_OFFSET: 9
; COMPUTE_PGM_RSRC3_GFX90A:TG_SPLIT: 0
	.section	.text._Z16warp_load_kernelILj256ELj16ELj64ELN6hipcub17WarpLoadAlgorithmE1EiEvPT3_S3_,"axG",@progbits,_Z16warp_load_kernelILj256ELj16ELj64ELN6hipcub17WarpLoadAlgorithmE1EiEvPT3_S3_,comdat
	.protected	_Z16warp_load_kernelILj256ELj16ELj64ELN6hipcub17WarpLoadAlgorithmE1EiEvPT3_S3_ ; -- Begin function _Z16warp_load_kernelILj256ELj16ELj64ELN6hipcub17WarpLoadAlgorithmE1EiEvPT3_S3_
	.globl	_Z16warp_load_kernelILj256ELj16ELj64ELN6hipcub17WarpLoadAlgorithmE1EiEvPT3_S3_
	.p2align	8
	.type	_Z16warp_load_kernelILj256ELj16ELj64ELN6hipcub17WarpLoadAlgorithmE1EiEvPT3_S3_,@function
_Z16warp_load_kernelILj256ELj16ELj64ELN6hipcub17WarpLoadAlgorithmE1EiEvPT3_S3_: ; @_Z16warp_load_kernelILj256ELj16ELj64ELN6hipcub17WarpLoadAlgorithmE1EiEvPT3_S3_
; %bb.0:
	s_load_dwordx4 s[0:3], s[4:5], 0x0
	v_lshlrev_b32_e32 v2, 4, v0
	s_lshl_b32 s4, s6, 12
	v_and_b32_e32 v2, 0xc00, v2
	v_or_b32_e32 v2, s4, v2
	v_mov_b32_e32 v3, 0
	v_mbcnt_lo_u32_b32 v1, -1, 0
	v_lshlrev_b64 v[4:5], 2, v[2:3]
	v_mbcnt_hi_u32_b32 v1, -1, v1
	s_waitcnt lgkmcnt(0)
	v_mov_b32_e32 v2, s1
	v_add_co_u32_e32 v4, vcc, s0, v4
	v_addc_co_u32_e32 v2, vcc, v2, v5, vcc
	v_lshlrev_b32_e32 v5, 2, v1
	v_add_co_u32_e32 v4, vcc, v4, v5
	v_lshlrev_b32_e32 v1, 6, v1
	v_addc_co_u32_e32 v2, vcc, 0, v2, vcc
	v_and_b32_e32 v1, 0x1000, v1
	v_add_co_u32_e32 v4, vcc, v4, v1
	v_addc_co_u32_e32 v5, vcc, 0, v2, vcc
	global_load_dword v14, v[4:5], off
	global_load_dword v15, v[4:5], off offset:256
	global_load_dword v16, v[4:5], off offset:512
	;; [unrolled: 1-line block ×12, first 2 shown]
	v_or_b32_e32 v2, s4, v0
	v_lshlrev_b64 v[12:13], 2, v[2:3]
	v_mov_b32_e32 v26, s3
	v_add_co_u32_e32 v12, vcc, s2, v12
	v_addc_co_u32_e32 v13, vcc, v26, v13, vcc
	global_load_dword v26, v[4:5], off offset:3328
	v_mov_b32_e32 v1, v3
	v_or_b32_e32 v0, 0x400, v2
	v_lshlrev_b64 v[0:1], 2, v[0:1]
	v_mov_b32_e32 v27, s3
	v_add_co_u32_e32 v0, vcc, s2, v0
	v_mov_b32_e32 v7, v3
	v_or_b32_e32 v6, 0x500, v2
	v_addc_co_u32_e32 v1, vcc, v27, v1, vcc
	global_load_dword v27, v[4:5], off offset:3584
	v_lshlrev_b64 v[6:7], 2, v[6:7]
	v_mov_b32_e32 v28, s3
	v_add_co_u32_e32 v6, vcc, s2, v6
	v_addc_co_u32_e32 v7, vcc, v28, v7, vcc
	global_load_dword v28, v[4:5], off offset:3840
	v_mov_b32_e32 v9, v3
	v_or_b32_e32 v8, 0x600, v2
	v_lshlrev_b64 v[8:9], 2, v[8:9]
	v_mov_b32_e32 v11, v3
	v_or_b32_e32 v10, 0x700, v2
	v_mov_b32_e32 v30, s3
	v_add_co_u32_e32 v8, vcc, s2, v8
	v_lshlrev_b64 v[10:11], 2, v[10:11]
	v_addc_co_u32_e32 v9, vcc, v30, v9, vcc
	v_mov_b32_e32 v31, s3
	v_add_co_u32_e32 v4, vcc, s2, v10
	v_addc_co_u32_e32 v5, vcc, v31, v11, vcc
	s_waitcnt vmcnt(15)
	global_store_dword v[12:13], v14, off
	s_waitcnt vmcnt(15)
	global_store_dword v[12:13], v15, off offset:1024
	s_waitcnt vmcnt(15)
	global_store_dword v[12:13], v16, off offset:2048
	;; [unrolled: 2-line block ×3, first 2 shown]
	s_waitcnt vmcnt(15)
	global_store_dword v[0:1], v18, off
	s_waitcnt vmcnt(15)
	global_store_dword v[6:7], v19, off
	;; [unrolled: 2-line block ×4, first 2 shown]
	v_or_b32_e32 v0, 0x800, v2
	v_mov_b32_e32 v1, v3
	v_lshlrev_b64 v[0:1], 2, v[0:1]
	v_mov_b32_e32 v4, s3
	v_add_co_u32_e32 v0, vcc, s2, v0
	v_addc_co_u32_e32 v1, vcc, v4, v1, vcc
	s_waitcnt vmcnt(15)
	global_store_dword v[0:1], v22, off
	v_or_b32_e32 v0, 0x900, v2
	v_mov_b32_e32 v1, v3
	v_lshlrev_b64 v[0:1], 2, v[0:1]
	v_add_co_u32_e32 v0, vcc, s2, v0
	v_addc_co_u32_e32 v1, vcc, v4, v1, vcc
	s_waitcnt vmcnt(15)
	global_store_dword v[0:1], v23, off
	v_or_b32_e32 v0, 0xa00, v2
	v_mov_b32_e32 v1, v3
	v_lshlrev_b64 v[0:1], 2, v[0:1]
	;; [unrolled: 7-line block ×6, first 2 shown]
	v_add_co_u32_e32 v0, vcc, s2, v0
	v_addc_co_u32_e32 v1, vcc, v4, v1, vcc
	v_or_b32_e32 v2, 0xf00, v2
	s_waitcnt vmcnt(15)
	global_store_dword v[0:1], v27, off
	v_lshlrev_b64 v[0:1], 2, v[2:3]
	v_mov_b32_e32 v2, s3
	v_add_co_u32_e32 v0, vcc, s2, v0
	v_addc_co_u32_e32 v1, vcc, v2, v1, vcc
	s_waitcnt vmcnt(15)
	global_store_dword v[0:1], v28, off
	s_endpgm
	.section	.rodata,"a",@progbits
	.p2align	6, 0x0
	.amdhsa_kernel _Z16warp_load_kernelILj256ELj16ELj64ELN6hipcub17WarpLoadAlgorithmE1EiEvPT3_S3_
		.amdhsa_group_segment_fixed_size 0
		.amdhsa_private_segment_fixed_size 0
		.amdhsa_kernarg_size 16
		.amdhsa_user_sgpr_count 6
		.amdhsa_user_sgpr_private_segment_buffer 1
		.amdhsa_user_sgpr_dispatch_ptr 0
		.amdhsa_user_sgpr_queue_ptr 0
		.amdhsa_user_sgpr_kernarg_segment_ptr 1
		.amdhsa_user_sgpr_dispatch_id 0
		.amdhsa_user_sgpr_flat_scratch_init 0
		.amdhsa_user_sgpr_kernarg_preload_length 0
		.amdhsa_user_sgpr_kernarg_preload_offset 0
		.amdhsa_user_sgpr_private_segment_size 0
		.amdhsa_uses_dynamic_stack 0
		.amdhsa_system_sgpr_private_segment_wavefront_offset 0
		.amdhsa_system_sgpr_workgroup_id_x 1
		.amdhsa_system_sgpr_workgroup_id_y 0
		.amdhsa_system_sgpr_workgroup_id_z 0
		.amdhsa_system_sgpr_workgroup_info 0
		.amdhsa_system_vgpr_workitem_id 0
		.amdhsa_next_free_vgpr 32
		.amdhsa_next_free_sgpr 7
		.amdhsa_accum_offset 32
		.amdhsa_reserve_vcc 1
		.amdhsa_reserve_flat_scratch 0
		.amdhsa_float_round_mode_32 0
		.amdhsa_float_round_mode_16_64 0
		.amdhsa_float_denorm_mode_32 3
		.amdhsa_float_denorm_mode_16_64 3
		.amdhsa_dx10_clamp 1
		.amdhsa_ieee_mode 1
		.amdhsa_fp16_overflow 0
		.amdhsa_tg_split 0
		.amdhsa_exception_fp_ieee_invalid_op 0
		.amdhsa_exception_fp_denorm_src 0
		.amdhsa_exception_fp_ieee_div_zero 0
		.amdhsa_exception_fp_ieee_overflow 0
		.amdhsa_exception_fp_ieee_underflow 0
		.amdhsa_exception_fp_ieee_inexact 0
		.amdhsa_exception_int_div_zero 0
	.end_amdhsa_kernel
	.section	.text._Z16warp_load_kernelILj256ELj16ELj64ELN6hipcub17WarpLoadAlgorithmE1EiEvPT3_S3_,"axG",@progbits,_Z16warp_load_kernelILj256ELj16ELj64ELN6hipcub17WarpLoadAlgorithmE1EiEvPT3_S3_,comdat
.Lfunc_end46:
	.size	_Z16warp_load_kernelILj256ELj16ELj64ELN6hipcub17WarpLoadAlgorithmE1EiEvPT3_S3_, .Lfunc_end46-_Z16warp_load_kernelILj256ELj16ELj64ELN6hipcub17WarpLoadAlgorithmE1EiEvPT3_S3_
                                        ; -- End function
	.section	.AMDGPU.csdata,"",@progbits
; Kernel info:
; codeLenInByte = 808
; NumSgprs: 11
; NumVgprs: 32
; NumAgprs: 0
; TotalNumVgprs: 32
; ScratchSize: 0
; MemoryBound: 0
; FloatMode: 240
; IeeeMode: 1
; LDSByteSize: 0 bytes/workgroup (compile time only)
; SGPRBlocks: 1
; VGPRBlocks: 3
; NumSGPRsForWavesPerEU: 11
; NumVGPRsForWavesPerEU: 32
; AccumOffset: 32
; Occupancy: 8
; WaveLimiterHint : 1
; COMPUTE_PGM_RSRC2:SCRATCH_EN: 0
; COMPUTE_PGM_RSRC2:USER_SGPR: 6
; COMPUTE_PGM_RSRC2:TRAP_HANDLER: 0
; COMPUTE_PGM_RSRC2:TGID_X_EN: 1
; COMPUTE_PGM_RSRC2:TGID_Y_EN: 0
; COMPUTE_PGM_RSRC2:TGID_Z_EN: 0
; COMPUTE_PGM_RSRC2:TIDIG_COMP_CNT: 0
; COMPUTE_PGM_RSRC3_GFX90A:ACCUM_OFFSET: 7
; COMPUTE_PGM_RSRC3_GFX90A:TG_SPLIT: 0
	.section	.text._Z16warp_load_kernelILj256ELj16ELj64ELN6hipcub17WarpLoadAlgorithmE2EiEvPT3_S3_,"axG",@progbits,_Z16warp_load_kernelILj256ELj16ELj64ELN6hipcub17WarpLoadAlgorithmE2EiEvPT3_S3_,comdat
	.protected	_Z16warp_load_kernelILj256ELj16ELj64ELN6hipcub17WarpLoadAlgorithmE2EiEvPT3_S3_ ; -- Begin function _Z16warp_load_kernelILj256ELj16ELj64ELN6hipcub17WarpLoadAlgorithmE2EiEvPT3_S3_
	.globl	_Z16warp_load_kernelILj256ELj16ELj64ELN6hipcub17WarpLoadAlgorithmE2EiEvPT3_S3_
	.p2align	8
	.type	_Z16warp_load_kernelILj256ELj16ELj64ELN6hipcub17WarpLoadAlgorithmE2EiEvPT3_S3_,@function
_Z16warp_load_kernelILj256ELj16ELj64ELN6hipcub17WarpLoadAlgorithmE2EiEvPT3_S3_: ; @_Z16warp_load_kernelILj256ELj16ELj64ELN6hipcub17WarpLoadAlgorithmE2EiEvPT3_S3_
; %bb.0:
	s_load_dwordx4 s[0:3], s[4:5], 0x0
	v_lshlrev_b32_e32 v2, 4, v0
	s_lshl_b32 s4, s6, 12
	v_and_b32_e32 v2, 0xc00, v2
	v_or_b32_e32 v18, s4, v2
	v_mov_b32_e32 v19, 0
	v_mbcnt_lo_u32_b32 v1, -1, 0
	v_lshlrev_b64 v[2:3], 2, v[18:19]
	v_mbcnt_hi_u32_b32 v1, -1, v1
	s_waitcnt lgkmcnt(0)
	v_mov_b32_e32 v4, s1
	v_add_co_u32_e32 v2, vcc, s0, v2
	v_addc_co_u32_e32 v3, vcc, v4, v3, vcc
	v_lshlrev_b32_e32 v1, 6, v1
	v_add_co_u32_e32 v20, vcc, v2, v1
	v_addc_co_u32_e32 v21, vcc, 0, v3, vcc
	global_load_dwordx4 v[2:5], v[20:21], off
	global_load_dwordx4 v[6:9], v[20:21], off offset:16
	global_load_dwordx4 v[10:13], v[20:21], off offset:32
	;; [unrolled: 1-line block ×3, first 2 shown]
	v_or_b32_e32 v18, s4, v0
	v_lshlrev_b64 v[30:31], 2, v[18:19]
	v_mov_b32_e32 v1, v19
	v_or_b32_e32 v0, 0x400, v18
	v_mov_b32_e32 v32, s3
	v_add_co_u32_e32 v30, vcc, s2, v30
	v_lshlrev_b64 v[0:1], 2, v[0:1]
	v_addc_co_u32_e32 v31, vcc, v32, v31, vcc
	v_mov_b32_e32 v21, v19
	v_or_b32_e32 v20, 0x500, v18
	v_mov_b32_e32 v33, s3
	v_add_co_u32_e32 v0, vcc, s2, v0
	v_lshlrev_b64 v[20:21], 2, v[20:21]
	v_addc_co_u32_e32 v1, vcc, v33, v1, vcc
	;; [unrolled: 6-line block ×6, first 2 shown]
	v_mov_b32_e32 v38, s3
	v_add_co_u32_e32 v28, vcc, s2, v28
	v_addc_co_u32_e32 v29, vcc, v38, v29, vcc
	s_waitcnt vmcnt(3)
	global_store_dword v[30:31], v2, off
	global_store_dword v[30:31], v3, off offset:1024
	global_store_dword v[30:31], v4, off offset:2048
	;; [unrolled: 1-line block ×3, first 2 shown]
	s_waitcnt vmcnt(6)
	global_store_dword v[0:1], v6, off
	global_store_dword v[20:21], v7, off
	;; [unrolled: 1-line block ×4, first 2 shown]
	s_waitcnt vmcnt(9)
	global_store_dword v[26:27], v10, off
	global_store_dword v[28:29], v11, off
	v_or_b32_e32 v0, 0xa00, v18
	v_mov_b32_e32 v1, v19
	v_lshlrev_b64 v[0:1], 2, v[0:1]
	v_mov_b32_e32 v2, s3
	v_add_co_u32_e32 v0, vcc, s2, v0
	v_addc_co_u32_e32 v1, vcc, v2, v1, vcc
	global_store_dword v[0:1], v12, off
	v_or_b32_e32 v0, 0xb00, v18
	v_mov_b32_e32 v1, v19
	v_lshlrev_b64 v[0:1], 2, v[0:1]
	v_add_co_u32_e32 v0, vcc, s2, v0
	v_addc_co_u32_e32 v1, vcc, v2, v1, vcc
	global_store_dword v[0:1], v13, off
	v_or_b32_e32 v0, 0xc00, v18
	v_mov_b32_e32 v1, v19
	v_lshlrev_b64 v[0:1], 2, v[0:1]
	v_add_co_u32_e32 v0, vcc, s2, v0
	v_addc_co_u32_e32 v1, vcc, v2, v1, vcc
	s_waitcnt vmcnt(12)
	global_store_dword v[0:1], v14, off
	v_or_b32_e32 v0, 0xd00, v18
	v_mov_b32_e32 v1, v19
	v_lshlrev_b64 v[0:1], 2, v[0:1]
	v_add_co_u32_e32 v0, vcc, s2, v0
	v_addc_co_u32_e32 v1, vcc, v2, v1, vcc
	global_store_dword v[0:1], v15, off
	v_or_b32_e32 v0, 0xe00, v18
	v_mov_b32_e32 v1, v19
	v_lshlrev_b64 v[0:1], 2, v[0:1]
	v_add_co_u32_e32 v0, vcc, s2, v0
	v_addc_co_u32_e32 v1, vcc, v2, v1, vcc
	v_or_b32_e32 v18, 0xf00, v18
	global_store_dword v[0:1], v16, off
	v_lshlrev_b64 v[0:1], 2, v[18:19]
	v_add_co_u32_e32 v0, vcc, s2, v0
	v_addc_co_u32_e32 v1, vcc, v2, v1, vcc
	global_store_dword v[0:1], v17, off
	s_endpgm
	.section	.rodata,"a",@progbits
	.p2align	6, 0x0
	.amdhsa_kernel _Z16warp_load_kernelILj256ELj16ELj64ELN6hipcub17WarpLoadAlgorithmE2EiEvPT3_S3_
		.amdhsa_group_segment_fixed_size 0
		.amdhsa_private_segment_fixed_size 0
		.amdhsa_kernarg_size 16
		.amdhsa_user_sgpr_count 6
		.amdhsa_user_sgpr_private_segment_buffer 1
		.amdhsa_user_sgpr_dispatch_ptr 0
		.amdhsa_user_sgpr_queue_ptr 0
		.amdhsa_user_sgpr_kernarg_segment_ptr 1
		.amdhsa_user_sgpr_dispatch_id 0
		.amdhsa_user_sgpr_flat_scratch_init 0
		.amdhsa_user_sgpr_kernarg_preload_length 0
		.amdhsa_user_sgpr_kernarg_preload_offset 0
		.amdhsa_user_sgpr_private_segment_size 0
		.amdhsa_uses_dynamic_stack 0
		.amdhsa_system_sgpr_private_segment_wavefront_offset 0
		.amdhsa_system_sgpr_workgroup_id_x 1
		.amdhsa_system_sgpr_workgroup_id_y 0
		.amdhsa_system_sgpr_workgroup_id_z 0
		.amdhsa_system_sgpr_workgroup_info 0
		.amdhsa_system_vgpr_workitem_id 0
		.amdhsa_next_free_vgpr 39
		.amdhsa_next_free_sgpr 7
		.amdhsa_accum_offset 40
		.amdhsa_reserve_vcc 1
		.amdhsa_reserve_flat_scratch 0
		.amdhsa_float_round_mode_32 0
		.amdhsa_float_round_mode_16_64 0
		.amdhsa_float_denorm_mode_32 3
		.amdhsa_float_denorm_mode_16_64 3
		.amdhsa_dx10_clamp 1
		.amdhsa_ieee_mode 1
		.amdhsa_fp16_overflow 0
		.amdhsa_tg_split 0
		.amdhsa_exception_fp_ieee_invalid_op 0
		.amdhsa_exception_fp_denorm_src 0
		.amdhsa_exception_fp_ieee_div_zero 0
		.amdhsa_exception_fp_ieee_overflow 0
		.amdhsa_exception_fp_ieee_underflow 0
		.amdhsa_exception_fp_ieee_inexact 0
		.amdhsa_exception_int_div_zero 0
	.end_amdhsa_kernel
	.section	.text._Z16warp_load_kernelILj256ELj16ELj64ELN6hipcub17WarpLoadAlgorithmE2EiEvPT3_S3_,"axG",@progbits,_Z16warp_load_kernelILj256ELj16ELj64ELN6hipcub17WarpLoadAlgorithmE2EiEvPT3_S3_,comdat
.Lfunc_end47:
	.size	_Z16warp_load_kernelILj256ELj16ELj64ELN6hipcub17WarpLoadAlgorithmE2EiEvPT3_S3_, .Lfunc_end47-_Z16warp_load_kernelILj256ELj16ELj64ELN6hipcub17WarpLoadAlgorithmE2EiEvPT3_S3_
                                        ; -- End function
	.section	.AMDGPU.csdata,"",@progbits
; Kernel info:
; codeLenInByte = 648
; NumSgprs: 11
; NumVgprs: 39
; NumAgprs: 0
; TotalNumVgprs: 39
; ScratchSize: 0
; MemoryBound: 0
; FloatMode: 240
; IeeeMode: 1
; LDSByteSize: 0 bytes/workgroup (compile time only)
; SGPRBlocks: 1
; VGPRBlocks: 4
; NumSGPRsForWavesPerEU: 11
; NumVGPRsForWavesPerEU: 39
; AccumOffset: 40
; Occupancy: 8
; WaveLimiterHint : 1
; COMPUTE_PGM_RSRC2:SCRATCH_EN: 0
; COMPUTE_PGM_RSRC2:USER_SGPR: 6
; COMPUTE_PGM_RSRC2:TRAP_HANDLER: 0
; COMPUTE_PGM_RSRC2:TGID_X_EN: 1
; COMPUTE_PGM_RSRC2:TGID_Y_EN: 0
; COMPUTE_PGM_RSRC2:TGID_Z_EN: 0
; COMPUTE_PGM_RSRC2:TIDIG_COMP_CNT: 0
; COMPUTE_PGM_RSRC3_GFX90A:ACCUM_OFFSET: 9
; COMPUTE_PGM_RSRC3_GFX90A:TG_SPLIT: 0
	.section	.text._Z16warp_load_kernelILj256ELj16ELj64ELN6hipcub17WarpLoadAlgorithmE3EiEvPT3_S3_,"axG",@progbits,_Z16warp_load_kernelILj256ELj16ELj64ELN6hipcub17WarpLoadAlgorithmE3EiEvPT3_S3_,comdat
	.protected	_Z16warp_load_kernelILj256ELj16ELj64ELN6hipcub17WarpLoadAlgorithmE3EiEvPT3_S3_ ; -- Begin function _Z16warp_load_kernelILj256ELj16ELj64ELN6hipcub17WarpLoadAlgorithmE3EiEvPT3_S3_
	.globl	_Z16warp_load_kernelILj256ELj16ELj64ELN6hipcub17WarpLoadAlgorithmE3EiEvPT3_S3_
	.p2align	8
	.type	_Z16warp_load_kernelILj256ELj16ELj64ELN6hipcub17WarpLoadAlgorithmE3EiEvPT3_S3_,@function
_Z16warp_load_kernelILj256ELj16ELj64ELN6hipcub17WarpLoadAlgorithmE3EiEvPT3_S3_: ; @_Z16warp_load_kernelILj256ELj16ELj64ELN6hipcub17WarpLoadAlgorithmE3EiEvPT3_S3_
; %bb.0:
	s_load_dwordx4 s[0:3], s[4:5], 0x0
	v_lshrrev_b32_e32 v4, 6, v0
	s_lshl_b32 s4, s6, 12
	v_lshl_or_b32 v16, v4, 10, s4
	v_mov_b32_e32 v17, 0
	v_mbcnt_lo_u32_b32 v1, -1, 0
	v_lshlrev_b64 v[2:3], 2, v[16:17]
	v_mbcnt_hi_u32_b32 v1, -1, v1
	s_waitcnt lgkmcnt(0)
	v_mov_b32_e32 v5, s1
	v_add_co_u32_e32 v2, vcc, s0, v2
	v_addc_co_u32_e32 v3, vcc, v5, v3, vcc
	v_lshlrev_b32_e32 v6, 2, v1
	v_add_co_u32_e32 v2, vcc, v2, v6
	v_lshlrev_b32_e32 v7, 6, v1
	v_addc_co_u32_e32 v3, vcc, 0, v3, vcc
	v_and_b32_e32 v1, 0x1000, v7
	v_add_co_u32_e32 v2, vcc, v2, v1
	v_addc_co_u32_e32 v3, vcc, 0, v3, vcc
	global_load_dword v10, v[2:3], off
	global_load_dword v11, v[2:3], off offset:256
	global_load_dword v12, v[2:3], off offset:512
	;; [unrolled: 1-line block ×15, first 2 shown]
	v_lshlrev_b32_e32 v2, 12, v4
	v_or_b32_e32 v16, s4, v0
	v_mov_b32_e32 v3, v17
	v_or_b32_e32 v34, v2, v6
	v_add_u32_e32 v35, v2, v7
	v_lshlrev_b64 v[6:7], 2, v[16:17]
	v_or_b32_e32 v2, 0x500, v16
	v_mov_b32_e32 v1, v17
	v_or_b32_e32 v0, 0x400, v16
	v_lshlrev_b64 v[8:9], 2, v[2:3]
	v_mov_b32_e32 v2, s3
	v_add_co_u32_e32 v20, vcc, s2, v6
	v_lshlrev_b64 v[0:1], 2, v[0:1]
	v_addc_co_u32_e32 v21, vcc, v2, v7, vcc
	v_mov_b32_e32 v3, s3
	v_add_co_u32_e32 v22, vcc, s2, v0
	v_mov_b32_e32 v5, v17
	v_or_b32_e32 v4, 0x600, v16
	v_addc_co_u32_e32 v23, vcc, v3, v1, vcc
	v_lshlrev_b64 v[18:19], 2, v[4:5]
	v_mov_b32_e32 v4, s3
	v_mov_b32_e32 v36, s3
	s_waitcnt vmcnt(14)
	ds_write2st64_b32 v34, v10, v11 offset1:1
	s_waitcnt vmcnt(12)
	ds_write2st64_b32 v34, v12, v13 offset0:2 offset1:3
	s_waitcnt vmcnt(10)
	ds_write2st64_b32 v34, v14, v15 offset0:4 offset1:5
	;; [unrolled: 2-line block ×7, first 2 shown]
	; wave barrier
	ds_read_b128 v[0:3], v35
	v_add_co_u32_e32 v24, vcc, s2, v8
	v_addc_co_u32_e32 v25, vcc, v4, v9, vcc
	ds_read_b128 v[4:7], v35 offset:16
	ds_read_b128 v[8:11], v35 offset:32
	;; [unrolled: 1-line block ×3, first 2 shown]
	s_waitcnt lgkmcnt(3)
	global_store_dword v[20:21], v0, off
	global_store_dword v[20:21], v1, off offset:1024
	global_store_dword v[20:21], v2, off offset:2048
	;; [unrolled: 1-line block ×3, first 2 shown]
	s_waitcnt lgkmcnt(2)
	global_store_dword v[22:23], v4, off
	global_store_dword v[24:25], v5, off
	v_add_co_u32_e32 v0, vcc, s2, v18
	v_addc_co_u32_e32 v1, vcc, v36, v19, vcc
	global_store_dword v[0:1], v6, off
	v_or_b32_e32 v0, 0x700, v16
	v_mov_b32_e32 v1, v17
	v_lshlrev_b64 v[0:1], 2, v[0:1]
	v_mov_b32_e32 v2, s3
	v_add_co_u32_e32 v0, vcc, s2, v0
	v_addc_co_u32_e32 v1, vcc, v2, v1, vcc
	global_store_dword v[0:1], v7, off
	v_or_b32_e32 v0, 0x800, v16
	v_mov_b32_e32 v1, v17
	v_lshlrev_b64 v[0:1], 2, v[0:1]
	v_add_co_u32_e32 v0, vcc, s2, v0
	v_addc_co_u32_e32 v1, vcc, v2, v1, vcc
	s_waitcnt lgkmcnt(1)
	global_store_dword v[0:1], v8, off
	v_or_b32_e32 v0, 0x900, v16
	v_mov_b32_e32 v1, v17
	v_lshlrev_b64 v[0:1], 2, v[0:1]
	v_add_co_u32_e32 v0, vcc, s2, v0
	v_addc_co_u32_e32 v1, vcc, v2, v1, vcc
	global_store_dword v[0:1], v9, off
	v_or_b32_e32 v0, 0xa00, v16
	v_mov_b32_e32 v1, v17
	v_lshlrev_b64 v[0:1], 2, v[0:1]
	v_add_co_u32_e32 v0, vcc, s2, v0
	v_addc_co_u32_e32 v1, vcc, v2, v1, vcc
	;; [unrolled: 6-line block ×4, first 2 shown]
	s_waitcnt lgkmcnt(0)
	global_store_dword v[0:1], v12, off
	v_or_b32_e32 v0, 0xd00, v16
	v_mov_b32_e32 v1, v17
	v_lshlrev_b64 v[0:1], 2, v[0:1]
	v_add_co_u32_e32 v0, vcc, s2, v0
	v_addc_co_u32_e32 v1, vcc, v2, v1, vcc
	global_store_dword v[0:1], v13, off
	v_or_b32_e32 v0, 0xe00, v16
	v_mov_b32_e32 v1, v17
	v_lshlrev_b64 v[0:1], 2, v[0:1]
	v_add_co_u32_e32 v0, vcc, s2, v0
	v_addc_co_u32_e32 v1, vcc, v2, v1, vcc
	v_or_b32_e32 v16, 0xf00, v16
	global_store_dword v[0:1], v14, off
	v_lshlrev_b64 v[0:1], 2, v[16:17]
	v_add_co_u32_e32 v0, vcc, s2, v0
	v_addc_co_u32_e32 v1, vcc, v2, v1, vcc
	global_store_dword v[0:1], v15, off
	s_endpgm
	.section	.rodata,"a",@progbits
	.p2align	6, 0x0
	.amdhsa_kernel _Z16warp_load_kernelILj256ELj16ELj64ELN6hipcub17WarpLoadAlgorithmE3EiEvPT3_S3_
		.amdhsa_group_segment_fixed_size 16384
		.amdhsa_private_segment_fixed_size 0
		.amdhsa_kernarg_size 16
		.amdhsa_user_sgpr_count 6
		.amdhsa_user_sgpr_private_segment_buffer 1
		.amdhsa_user_sgpr_dispatch_ptr 0
		.amdhsa_user_sgpr_queue_ptr 0
		.amdhsa_user_sgpr_kernarg_segment_ptr 1
		.amdhsa_user_sgpr_dispatch_id 0
		.amdhsa_user_sgpr_flat_scratch_init 0
		.amdhsa_user_sgpr_kernarg_preload_length 0
		.amdhsa_user_sgpr_kernarg_preload_offset 0
		.amdhsa_user_sgpr_private_segment_size 0
		.amdhsa_uses_dynamic_stack 0
		.amdhsa_system_sgpr_private_segment_wavefront_offset 0
		.amdhsa_system_sgpr_workgroup_id_x 1
		.amdhsa_system_sgpr_workgroup_id_y 0
		.amdhsa_system_sgpr_workgroup_id_z 0
		.amdhsa_system_sgpr_workgroup_info 0
		.amdhsa_system_vgpr_workitem_id 0
		.amdhsa_next_free_vgpr 37
		.amdhsa_next_free_sgpr 7
		.amdhsa_accum_offset 40
		.amdhsa_reserve_vcc 1
		.amdhsa_reserve_flat_scratch 0
		.amdhsa_float_round_mode_32 0
		.amdhsa_float_round_mode_16_64 0
		.amdhsa_float_denorm_mode_32 3
		.amdhsa_float_denorm_mode_16_64 3
		.amdhsa_dx10_clamp 1
		.amdhsa_ieee_mode 1
		.amdhsa_fp16_overflow 0
		.amdhsa_tg_split 0
		.amdhsa_exception_fp_ieee_invalid_op 0
		.amdhsa_exception_fp_denorm_src 0
		.amdhsa_exception_fp_ieee_div_zero 0
		.amdhsa_exception_fp_ieee_overflow 0
		.amdhsa_exception_fp_ieee_underflow 0
		.amdhsa_exception_fp_ieee_inexact 0
		.amdhsa_exception_int_div_zero 0
	.end_amdhsa_kernel
	.section	.text._Z16warp_load_kernelILj256ELj16ELj64ELN6hipcub17WarpLoadAlgorithmE3EiEvPT3_S3_,"axG",@progbits,_Z16warp_load_kernelILj256ELj16ELj64ELN6hipcub17WarpLoadAlgorithmE3EiEvPT3_S3_,comdat
.Lfunc_end48:
	.size	_Z16warp_load_kernelILj256ELj16ELj64ELN6hipcub17WarpLoadAlgorithmE3EiEvPT3_S3_, .Lfunc_end48-_Z16warp_load_kernelILj256ELj16ELj64ELN6hipcub17WarpLoadAlgorithmE3EiEvPT3_S3_
                                        ; -- End function
	.section	.AMDGPU.csdata,"",@progbits
; Kernel info:
; codeLenInByte = 888
; NumSgprs: 11
; NumVgprs: 37
; NumAgprs: 0
; TotalNumVgprs: 37
; ScratchSize: 0
; MemoryBound: 1
; FloatMode: 240
; IeeeMode: 1
; LDSByteSize: 16384 bytes/workgroup (compile time only)
; SGPRBlocks: 1
; VGPRBlocks: 4
; NumSGPRsForWavesPerEU: 11
; NumVGPRsForWavesPerEU: 37
; AccumOffset: 40
; Occupancy: 4
; WaveLimiterHint : 1
; COMPUTE_PGM_RSRC2:SCRATCH_EN: 0
; COMPUTE_PGM_RSRC2:USER_SGPR: 6
; COMPUTE_PGM_RSRC2:TRAP_HANDLER: 0
; COMPUTE_PGM_RSRC2:TGID_X_EN: 1
; COMPUTE_PGM_RSRC2:TGID_Y_EN: 0
; COMPUTE_PGM_RSRC2:TGID_Z_EN: 0
; COMPUTE_PGM_RSRC2:TIDIG_COMP_CNT: 0
; COMPUTE_PGM_RSRC3_GFX90A:ACCUM_OFFSET: 9
; COMPUTE_PGM_RSRC3_GFX90A:TG_SPLIT: 0
	.section	.text._Z16warp_load_kernelILj256ELj32ELj64ELN6hipcub17WarpLoadAlgorithmE0EiEvPT3_S3_,"axG",@progbits,_Z16warp_load_kernelILj256ELj32ELj64ELN6hipcub17WarpLoadAlgorithmE0EiEvPT3_S3_,comdat
	.protected	_Z16warp_load_kernelILj256ELj32ELj64ELN6hipcub17WarpLoadAlgorithmE0EiEvPT3_S3_ ; -- Begin function _Z16warp_load_kernelILj256ELj32ELj64ELN6hipcub17WarpLoadAlgorithmE0EiEvPT3_S3_
	.globl	_Z16warp_load_kernelILj256ELj32ELj64ELN6hipcub17WarpLoadAlgorithmE0EiEvPT3_S3_
	.p2align	8
	.type	_Z16warp_load_kernelILj256ELj32ELj64ELN6hipcub17WarpLoadAlgorithmE0EiEvPT3_S3_,@function
_Z16warp_load_kernelILj256ELj32ELj64ELN6hipcub17WarpLoadAlgorithmE0EiEvPT3_S3_: ; @_Z16warp_load_kernelILj256ELj32ELj64ELN6hipcub17WarpLoadAlgorithmE0EiEvPT3_S3_
; %bb.0:
	s_load_dwordx4 s[0:3], s[4:5], 0x0
	v_lshlrev_b32_e32 v2, 5, v0
	s_lshl_b32 s4, s6, 13
	v_and_b32_e32 v2, 0x1800, v2
	v_or_b32_e32 v4, s4, v2
	v_mov_b32_e32 v5, 0
	v_mbcnt_lo_u32_b32 v1, -1, 0
	v_lshlrev_b64 v[2:3], 2, v[4:5]
	v_mbcnt_hi_u32_b32 v1, -1, v1
	s_waitcnt lgkmcnt(0)
	v_mov_b32_e32 v4, s1
	v_add_co_u32_e32 v2, vcc, s0, v2
	v_addc_co_u32_e32 v3, vcc, v4, v3, vcc
	v_lshlrev_b32_e32 v1, 7, v1
	v_add_co_u32_e32 v34, vcc, v2, v1
	v_addc_co_u32_e32 v35, vcc, 0, v3, vcc
	global_load_dwordx4 v[6:9], v[34:35], off
	global_load_dwordx4 v[10:13], v[34:35], off offset:16
	global_load_dwordx4 v[14:17], v[34:35], off offset:32
	;; [unrolled: 1-line block ×3, first 2 shown]
	v_or_b32_e32 v4, s4, v0
	v_lshlrev_b64 v[30:31], 2, v[4:5]
	v_mov_b32_e32 v1, v5
	v_or_b32_e32 v0, 0x400, v4
	v_mov_b32_e32 v39, s3
	v_add_co_u32_e32 v38, vcc, s2, v30
	v_lshlrev_b64 v[0:1], 2, v[0:1]
	v_addc_co_u32_e32 v39, vcc, v39, v31, vcc
	v_mov_b32_e32 v3, v5
	v_or_b32_e32 v2, 0x500, v4
	v_mov_b32_e32 v41, s3
	v_add_co_u32_e32 v40, vcc, s2, v0
	v_lshlrev_b64 v[2:3], 2, v[2:3]
	v_addc_co_u32_e32 v41, vcc, v41, v1, vcc
	;; [unrolled: 6-line block ×4, first 2 shown]
	v_mov_b32_e32 v27, v5
	v_mov_b32_e32 v29, v5
	v_or_b32_e32 v26, 0x800, v4
	v_or_b32_e32 v28, 0x900, v4
	v_mov_b32_e32 v47, s3
	v_add_co_u32_e32 v46, vcc, s2, v24
	v_lshlrev_b64 v[32:33], 2, v[26:27]
	v_lshlrev_b64 v[36:37], 2, v[28:29]
	v_addc_co_u32_e32 v47, vcc, v47, v25, vcc
	global_load_dwordx4 v[22:25], v[34:35], off offset:80
	global_load_dwordx4 v[26:29], v[34:35], off offset:64
	v_mov_b32_e32 v49, s3
	v_add_co_u32_e32 v48, vcc, s2, v32
	v_addc_co_u32_e32 v49, vcc, v49, v33, vcc
	global_load_dwordx4 v[0:3], v[34:35], off offset:112
	global_load_dwordx4 v[30:33], v[34:35], off offset:96
	v_mov_b32_e32 v50, s3
	s_waitcnt vmcnt(7)
	global_store_dword v[38:39], v6, off
	global_store_dword v[38:39], v7, off offset:1024
	global_store_dword v[38:39], v8, off offset:2048
	;; [unrolled: 1-line block ×3, first 2 shown]
	s_waitcnt vmcnt(10)
	global_store_dword v[40:41], v10, off
	global_store_dword v[42:43], v11, off
	;; [unrolled: 1-line block ×4, first 2 shown]
	s_waitcnt vmcnt(13)
	global_store_dword v[48:49], v14, off
	v_add_co_u32_e32 v6, vcc, s2, v36
	v_addc_co_u32_e32 v7, vcc, v50, v37, vcc
	global_store_dword v[6:7], v15, off
	v_or_b32_e32 v6, 0xa00, v4
	v_mov_b32_e32 v7, v5
	v_lshlrev_b64 v[6:7], 2, v[6:7]
	v_mov_b32_e32 v8, s3
	v_add_co_u32_e32 v6, vcc, s2, v6
	v_addc_co_u32_e32 v7, vcc, v8, v7, vcc
	global_store_dword v[6:7], v16, off
	v_or_b32_e32 v6, 0xb00, v4
	v_mov_b32_e32 v7, v5
	v_lshlrev_b64 v[6:7], 2, v[6:7]
	v_add_co_u32_e32 v6, vcc, s2, v6
	v_addc_co_u32_e32 v7, vcc, v8, v7, vcc
	global_store_dword v[6:7], v17, off
	v_or_b32_e32 v6, 0xc00, v4
	v_mov_b32_e32 v7, v5
	v_lshlrev_b64 v[6:7], 2, v[6:7]
	v_add_co_u32_e32 v6, vcc, s2, v6
	v_addc_co_u32_e32 v7, vcc, v8, v7, vcc
	s_waitcnt vmcnt(16)
	global_store_dword v[6:7], v18, off
	v_or_b32_e32 v6, 0xd00, v4
	v_mov_b32_e32 v7, v5
	v_lshlrev_b64 v[6:7], 2, v[6:7]
	v_add_co_u32_e32 v6, vcc, s2, v6
	v_addc_co_u32_e32 v7, vcc, v8, v7, vcc
	global_store_dword v[6:7], v19, off
	v_or_b32_e32 v6, 0xe00, v4
	v_mov_b32_e32 v7, v5
	v_lshlrev_b64 v[6:7], 2, v[6:7]
	v_add_co_u32_e32 v6, vcc, s2, v6
	v_addc_co_u32_e32 v7, vcc, v8, v7, vcc
	global_store_dword v[6:7], v20, off
	v_or_b32_e32 v6, 0xf00, v4
	v_mov_b32_e32 v7, v5
	v_lshlrev_b64 v[6:7], 2, v[6:7]
	v_add_co_u32_e32 v6, vcc, s2, v6
	v_addc_co_u32_e32 v7, vcc, v8, v7, vcc
	global_store_dword v[6:7], v21, off
	v_or_b32_e32 v6, 0x1000, v4
	v_mov_b32_e32 v7, v5
	v_lshlrev_b64 v[6:7], 2, v[6:7]
	v_add_co_u32_e32 v6, vcc, s2, v6
	v_addc_co_u32_e32 v7, vcc, v8, v7, vcc
	s_waitcnt vmcnt(18)
	global_store_dword v[6:7], v26, off
	v_or_b32_e32 v6, 0x1100, v4
	v_mov_b32_e32 v7, v5
	v_lshlrev_b64 v[6:7], 2, v[6:7]
	v_add_co_u32_e32 v6, vcc, s2, v6
	v_addc_co_u32_e32 v7, vcc, v8, v7, vcc
	global_store_dword v[6:7], v27, off
	v_or_b32_e32 v6, 0x1200, v4
	v_mov_b32_e32 v7, v5
	v_lshlrev_b64 v[6:7], 2, v[6:7]
	v_add_co_u32_e32 v6, vcc, s2, v6
	v_addc_co_u32_e32 v7, vcc, v8, v7, vcc
	;; [unrolled: 6-line block ×8, first 2 shown]
	s_waitcnt vmcnt(24)
	global_store_dword v[6:7], v30, off
	v_or_b32_e32 v6, 0x1900, v4
	v_mov_b32_e32 v7, v5
	v_lshlrev_b64 v[6:7], 2, v[6:7]
	v_add_co_u32_e32 v6, vcc, s2, v6
	v_addc_co_u32_e32 v7, vcc, v8, v7, vcc
	global_store_dword v[6:7], v31, off
	v_or_b32_e32 v6, 0x1a00, v4
	v_mov_b32_e32 v7, v5
	v_lshlrev_b64 v[6:7], 2, v[6:7]
	v_add_co_u32_e32 v6, vcc, s2, v6
	v_addc_co_u32_e32 v7, vcc, v8, v7, vcc
	;; [unrolled: 6-line block ×4, first 2 shown]
	global_store_dword v[6:7], v0, off
	v_or_b32_e32 v6, 0x1d00, v4
	v_mov_b32_e32 v7, v5
	v_lshlrev_b64 v[6:7], 2, v[6:7]
	v_mov_b32_e32 v0, s3
	v_add_co_u32_e32 v6, vcc, s2, v6
	v_addc_co_u32_e32 v7, vcc, v0, v7, vcc
	global_store_dword v[6:7], v1, off
	v_or_b32_e32 v0, 0x1e00, v4
	v_mov_b32_e32 v1, v5
	v_lshlrev_b64 v[0:1], 2, v[0:1]
	v_mov_b32_e32 v6, s3
	v_add_co_u32_e32 v0, vcc, s2, v0
	v_addc_co_u32_e32 v1, vcc, v6, v1, vcc
	v_or_b32_e32 v4, 0x1f00, v4
	global_store_dword v[0:1], v2, off
	v_lshlrev_b64 v[0:1], 2, v[4:5]
	v_mov_b32_e32 v2, s3
	v_add_co_u32_e32 v0, vcc, s2, v0
	v_addc_co_u32_e32 v1, vcc, v2, v1, vcc
	global_store_dword v[0:1], v3, off
	s_endpgm
	.section	.rodata,"a",@progbits
	.p2align	6, 0x0
	.amdhsa_kernel _Z16warp_load_kernelILj256ELj32ELj64ELN6hipcub17WarpLoadAlgorithmE0EiEvPT3_S3_
		.amdhsa_group_segment_fixed_size 0
		.amdhsa_private_segment_fixed_size 0
		.amdhsa_kernarg_size 16
		.amdhsa_user_sgpr_count 6
		.amdhsa_user_sgpr_private_segment_buffer 1
		.amdhsa_user_sgpr_dispatch_ptr 0
		.amdhsa_user_sgpr_queue_ptr 0
		.amdhsa_user_sgpr_kernarg_segment_ptr 1
		.amdhsa_user_sgpr_dispatch_id 0
		.amdhsa_user_sgpr_flat_scratch_init 0
		.amdhsa_user_sgpr_kernarg_preload_length 0
		.amdhsa_user_sgpr_kernarg_preload_offset 0
		.amdhsa_user_sgpr_private_segment_size 0
		.amdhsa_uses_dynamic_stack 0
		.amdhsa_system_sgpr_private_segment_wavefront_offset 0
		.amdhsa_system_sgpr_workgroup_id_x 1
		.amdhsa_system_sgpr_workgroup_id_y 0
		.amdhsa_system_sgpr_workgroup_id_z 0
		.amdhsa_system_sgpr_workgroup_info 0
		.amdhsa_system_vgpr_workitem_id 0
		.amdhsa_next_free_vgpr 51
		.amdhsa_next_free_sgpr 7
		.amdhsa_accum_offset 52
		.amdhsa_reserve_vcc 1
		.amdhsa_reserve_flat_scratch 0
		.amdhsa_float_round_mode_32 0
		.amdhsa_float_round_mode_16_64 0
		.amdhsa_float_denorm_mode_32 3
		.amdhsa_float_denorm_mode_16_64 3
		.amdhsa_dx10_clamp 1
		.amdhsa_ieee_mode 1
		.amdhsa_fp16_overflow 0
		.amdhsa_tg_split 0
		.amdhsa_exception_fp_ieee_invalid_op 0
		.amdhsa_exception_fp_denorm_src 0
		.amdhsa_exception_fp_ieee_div_zero 0
		.amdhsa_exception_fp_ieee_overflow 0
		.amdhsa_exception_fp_ieee_underflow 0
		.amdhsa_exception_fp_ieee_inexact 0
		.amdhsa_exception_int_div_zero 0
	.end_amdhsa_kernel
	.section	.text._Z16warp_load_kernelILj256ELj32ELj64ELN6hipcub17WarpLoadAlgorithmE0EiEvPT3_S3_,"axG",@progbits,_Z16warp_load_kernelILj256ELj32ELj64ELN6hipcub17WarpLoadAlgorithmE0EiEvPT3_S3_,comdat
.Lfunc_end49:
	.size	_Z16warp_load_kernelILj256ELj32ELj64ELN6hipcub17WarpLoadAlgorithmE0EiEvPT3_S3_, .Lfunc_end49-_Z16warp_load_kernelILj256ELj32ELj64ELN6hipcub17WarpLoadAlgorithmE0EiEvPT3_S3_
                                        ; -- End function
	.section	.AMDGPU.csdata,"",@progbits
; Kernel info:
; codeLenInByte = 1276
; NumSgprs: 11
; NumVgprs: 51
; NumAgprs: 0
; TotalNumVgprs: 51
; ScratchSize: 0
; MemoryBound: 0
; FloatMode: 240
; IeeeMode: 1
; LDSByteSize: 0 bytes/workgroup (compile time only)
; SGPRBlocks: 1
; VGPRBlocks: 6
; NumSGPRsForWavesPerEU: 11
; NumVGPRsForWavesPerEU: 51
; AccumOffset: 52
; Occupancy: 8
; WaveLimiterHint : 1
; COMPUTE_PGM_RSRC2:SCRATCH_EN: 0
; COMPUTE_PGM_RSRC2:USER_SGPR: 6
; COMPUTE_PGM_RSRC2:TRAP_HANDLER: 0
; COMPUTE_PGM_RSRC2:TGID_X_EN: 1
; COMPUTE_PGM_RSRC2:TGID_Y_EN: 0
; COMPUTE_PGM_RSRC2:TGID_Z_EN: 0
; COMPUTE_PGM_RSRC2:TIDIG_COMP_CNT: 0
; COMPUTE_PGM_RSRC3_GFX90A:ACCUM_OFFSET: 12
; COMPUTE_PGM_RSRC3_GFX90A:TG_SPLIT: 0
	.section	.text._Z16warp_load_kernelILj256ELj32ELj64ELN6hipcub17WarpLoadAlgorithmE1EiEvPT3_S3_,"axG",@progbits,_Z16warp_load_kernelILj256ELj32ELj64ELN6hipcub17WarpLoadAlgorithmE1EiEvPT3_S3_,comdat
	.protected	_Z16warp_load_kernelILj256ELj32ELj64ELN6hipcub17WarpLoadAlgorithmE1EiEvPT3_S3_ ; -- Begin function _Z16warp_load_kernelILj256ELj32ELj64ELN6hipcub17WarpLoadAlgorithmE1EiEvPT3_S3_
	.globl	_Z16warp_load_kernelILj256ELj32ELj64ELN6hipcub17WarpLoadAlgorithmE1EiEvPT3_S3_
	.p2align	8
	.type	_Z16warp_load_kernelILj256ELj32ELj64ELN6hipcub17WarpLoadAlgorithmE1EiEvPT3_S3_,@function
_Z16warp_load_kernelILj256ELj32ELj64ELN6hipcub17WarpLoadAlgorithmE1EiEvPT3_S3_: ; @_Z16warp_load_kernelILj256ELj32ELj64ELN6hipcub17WarpLoadAlgorithmE1EiEvPT3_S3_
; %bb.0:
	s_load_dwordx4 s[0:3], s[4:5], 0x0
	v_lshlrev_b32_e32 v2, 5, v0
	s_lshl_b32 s4, s6, 13
	v_and_b32_e32 v2, 0x1800, v2
	v_or_b32_e32 v2, s4, v2
	v_mov_b32_e32 v3, 0
	v_mbcnt_lo_u32_b32 v1, -1, 0
	v_lshlrev_b64 v[4:5], 2, v[2:3]
	v_mbcnt_hi_u32_b32 v1, -1, v1
	s_waitcnt lgkmcnt(0)
	v_mov_b32_e32 v2, s1
	v_add_co_u32_e32 v4, vcc, s0, v4
	v_addc_co_u32_e32 v2, vcc, v2, v5, vcc
	v_lshlrev_b32_e32 v5, 2, v1
	v_add_co_u32_e32 v4, vcc, v4, v5
	v_lshlrev_b32_e32 v1, 7, v1
	v_addc_co_u32_e32 v2, vcc, 0, v2, vcc
	v_and_b32_e32 v1, 0x2000, v1
	v_add_co_u32_e32 v4, vcc, v4, v1
	v_addc_co_u32_e32 v5, vcc, 0, v2, vcc
	global_load_dword v10, v[4:5], off
	global_load_dword v11, v[4:5], off offset:256
	global_load_dword v12, v[4:5], off offset:512
	;; [unrolled: 1-line block ×9, first 2 shown]
	v_or_b32_e32 v2, s4, v0
	v_lshlrev_b64 v[8:9], 2, v[2:3]
	v_mov_b32_e32 v1, v3
	v_or_b32_e32 v0, 0x400, v2
	v_mov_b32_e32 v19, s3
	v_add_co_u32_e32 v8, vcc, s2, v8
	v_lshlrev_b64 v[0:1], 2, v[0:1]
	v_addc_co_u32_e32 v9, vcc, v19, v9, vcc
	v_mov_b32_e32 v20, s3
	v_add_co_u32_e32 v0, vcc, s2, v0
	v_addc_co_u32_e32 v1, vcc, v20, v1, vcc
	global_load_dword v19, v[4:5], off offset:2560
	global_load_dword v20, v[4:5], off offset:2816
	;; [unrolled: 1-line block ×6, first 2 shown]
	s_movk_i32 s0, 0x1000
	v_add_co_u32_e32 v4, vcc, s0, v4
	v_addc_co_u32_e32 v5, vcc, 0, v5, vcc
	global_load_dword v27, v[4:5], off
	global_load_dword v28, v[4:5], off offset:256
	global_load_dword v29, v[4:5], off offset:512
	global_load_dword v30, v[4:5], off offset:768
	global_load_dword v31, v[4:5], off offset:1024
	global_load_dword v32, v[4:5], off offset:1280
	global_load_dword v33, v[4:5], off offset:1536
	global_load_dword v34, v[4:5], off offset:1792
	global_load_dword v35, v[4:5], off offset:2048
	global_load_dword v36, v[4:5], off offset:2304
	global_load_dword v37, v[4:5], off offset:2560
	global_load_dword v38, v[4:5], off offset:2816
	global_load_dword v39, v[4:5], off offset:3072
	global_load_dword v40, v[4:5], off offset:3328
	global_load_dword v41, v[4:5], off offset:3584
	s_nop 0
	global_load_dword v4, v[4:5], off offset:3840
	v_mov_b32_e32 v7, v3
	v_or_b32_e32 v6, 0x500, v2
	v_lshlrev_b64 v[6:7], 2, v[6:7]
	v_mov_b32_e32 v21, s3
	v_mov_b32_e32 v5, s3
	s_waitcnt vmcnt(31)
	global_store_dword v[8:9], v10, off
	s_waitcnt vmcnt(31)
	global_store_dword v[8:9], v11, off offset:1024
	s_waitcnt vmcnt(31)
	global_store_dword v[8:9], v12, off offset:2048
	;; [unrolled: 2-line block ×3, first 2 shown]
	s_waitcnt vmcnt(31)
	global_store_dword v[0:1], v14, off
	v_add_co_u32_e32 v0, vcc, s2, v6
	v_addc_co_u32_e32 v1, vcc, v21, v7, vcc
	s_waitcnt vmcnt(31)
	global_store_dword v[0:1], v15, off
	v_or_b32_e32 v0, 0x600, v2
	v_mov_b32_e32 v1, v3
	v_lshlrev_b64 v[0:1], 2, v[0:1]
	v_add_co_u32_e32 v0, vcc, s2, v0
	v_addc_co_u32_e32 v1, vcc, v5, v1, vcc
	s_waitcnt vmcnt(31)
	global_store_dword v[0:1], v16, off
	v_or_b32_e32 v0, 0x700, v2
	v_mov_b32_e32 v1, v3
	v_lshlrev_b64 v[0:1], 2, v[0:1]
	;; [unrolled: 7-line block ×25, first 2 shown]
	v_add_co_u32_e32 v0, vcc, s2, v0
	v_addc_co_u32_e32 v1, vcc, v5, v1, vcc
	v_or_b32_e32 v2, 0x1f00, v2
	s_waitcnt vmcnt(31)
	global_store_dword v[0:1], v41, off
	v_lshlrev_b64 v[0:1], 2, v[2:3]
	v_mov_b32_e32 v2, s3
	v_add_co_u32_e32 v0, vcc, s2, v0
	v_addc_co_u32_e32 v1, vcc, v2, v1, vcc
	s_waitcnt vmcnt(31)
	global_store_dword v[0:1], v4, off
	s_endpgm
	.section	.rodata,"a",@progbits
	.p2align	6, 0x0
	.amdhsa_kernel _Z16warp_load_kernelILj256ELj32ELj64ELN6hipcub17WarpLoadAlgorithmE1EiEvPT3_S3_
		.amdhsa_group_segment_fixed_size 0
		.amdhsa_private_segment_fixed_size 0
		.amdhsa_kernarg_size 16
		.amdhsa_user_sgpr_count 6
		.amdhsa_user_sgpr_private_segment_buffer 1
		.amdhsa_user_sgpr_dispatch_ptr 0
		.amdhsa_user_sgpr_queue_ptr 0
		.amdhsa_user_sgpr_kernarg_segment_ptr 1
		.amdhsa_user_sgpr_dispatch_id 0
		.amdhsa_user_sgpr_flat_scratch_init 0
		.amdhsa_user_sgpr_kernarg_preload_length 0
		.amdhsa_user_sgpr_kernarg_preload_offset 0
		.amdhsa_user_sgpr_private_segment_size 0
		.amdhsa_uses_dynamic_stack 0
		.amdhsa_system_sgpr_private_segment_wavefront_offset 0
		.amdhsa_system_sgpr_workgroup_id_x 1
		.amdhsa_system_sgpr_workgroup_id_y 0
		.amdhsa_system_sgpr_workgroup_id_z 0
		.amdhsa_system_sgpr_workgroup_info 0
		.amdhsa_system_vgpr_workitem_id 0
		.amdhsa_next_free_vgpr 42
		.amdhsa_next_free_sgpr 7
		.amdhsa_accum_offset 44
		.amdhsa_reserve_vcc 1
		.amdhsa_reserve_flat_scratch 0
		.amdhsa_float_round_mode_32 0
		.amdhsa_float_round_mode_16_64 0
		.amdhsa_float_denorm_mode_32 3
		.amdhsa_float_denorm_mode_16_64 3
		.amdhsa_dx10_clamp 1
		.amdhsa_ieee_mode 1
		.amdhsa_fp16_overflow 0
		.amdhsa_tg_split 0
		.amdhsa_exception_fp_ieee_invalid_op 0
		.amdhsa_exception_fp_denorm_src 0
		.amdhsa_exception_fp_ieee_div_zero 0
		.amdhsa_exception_fp_ieee_overflow 0
		.amdhsa_exception_fp_ieee_underflow 0
		.amdhsa_exception_fp_ieee_inexact 0
		.amdhsa_exception_int_div_zero 0
	.end_amdhsa_kernel
	.section	.text._Z16warp_load_kernelILj256ELj32ELj64ELN6hipcub17WarpLoadAlgorithmE1EiEvPT3_S3_,"axG",@progbits,_Z16warp_load_kernelILj256ELj32ELj64ELN6hipcub17WarpLoadAlgorithmE1EiEvPT3_S3_,comdat
.Lfunc_end50:
	.size	_Z16warp_load_kernelILj256ELj32ELj64ELN6hipcub17WarpLoadAlgorithmE1EiEvPT3_S3_, .Lfunc_end50-_Z16warp_load_kernelILj256ELj32ELj64ELN6hipcub17WarpLoadAlgorithmE1EiEvPT3_S3_
                                        ; -- End function
	.section	.AMDGPU.csdata,"",@progbits
; Kernel info:
; codeLenInByte = 1584
; NumSgprs: 11
; NumVgprs: 42
; NumAgprs: 0
; TotalNumVgprs: 42
; ScratchSize: 0
; MemoryBound: 0
; FloatMode: 240
; IeeeMode: 1
; LDSByteSize: 0 bytes/workgroup (compile time only)
; SGPRBlocks: 1
; VGPRBlocks: 5
; NumSGPRsForWavesPerEU: 11
; NumVGPRsForWavesPerEU: 42
; AccumOffset: 44
; Occupancy: 8
; WaveLimiterHint : 1
; COMPUTE_PGM_RSRC2:SCRATCH_EN: 0
; COMPUTE_PGM_RSRC2:USER_SGPR: 6
; COMPUTE_PGM_RSRC2:TRAP_HANDLER: 0
; COMPUTE_PGM_RSRC2:TGID_X_EN: 1
; COMPUTE_PGM_RSRC2:TGID_Y_EN: 0
; COMPUTE_PGM_RSRC2:TGID_Z_EN: 0
; COMPUTE_PGM_RSRC2:TIDIG_COMP_CNT: 0
; COMPUTE_PGM_RSRC3_GFX90A:ACCUM_OFFSET: 10
; COMPUTE_PGM_RSRC3_GFX90A:TG_SPLIT: 0
	.section	.text._Z16warp_load_kernelILj256ELj32ELj64ELN6hipcub17WarpLoadAlgorithmE2EiEvPT3_S3_,"axG",@progbits,_Z16warp_load_kernelILj256ELj32ELj64ELN6hipcub17WarpLoadAlgorithmE2EiEvPT3_S3_,comdat
	.protected	_Z16warp_load_kernelILj256ELj32ELj64ELN6hipcub17WarpLoadAlgorithmE2EiEvPT3_S3_ ; -- Begin function _Z16warp_load_kernelILj256ELj32ELj64ELN6hipcub17WarpLoadAlgorithmE2EiEvPT3_S3_
	.globl	_Z16warp_load_kernelILj256ELj32ELj64ELN6hipcub17WarpLoadAlgorithmE2EiEvPT3_S3_
	.p2align	8
	.type	_Z16warp_load_kernelILj256ELj32ELj64ELN6hipcub17WarpLoadAlgorithmE2EiEvPT3_S3_,@function
_Z16warp_load_kernelILj256ELj32ELj64ELN6hipcub17WarpLoadAlgorithmE2EiEvPT3_S3_: ; @_Z16warp_load_kernelILj256ELj32ELj64ELN6hipcub17WarpLoadAlgorithmE2EiEvPT3_S3_
; %bb.0:
	s_load_dwordx4 s[0:3], s[4:5], 0x0
	v_lshlrev_b32_e32 v2, 5, v0
	s_lshl_b32 s4, s6, 13
	v_and_b32_e32 v2, 0x1800, v2
	v_or_b32_e32 v4, s4, v2
	v_mov_b32_e32 v5, 0
	v_mbcnt_lo_u32_b32 v1, -1, 0
	v_lshlrev_b64 v[2:3], 2, v[4:5]
	v_mbcnt_hi_u32_b32 v1, -1, v1
	s_waitcnt lgkmcnt(0)
	v_mov_b32_e32 v4, s1
	v_add_co_u32_e32 v2, vcc, s0, v2
	v_addc_co_u32_e32 v3, vcc, v4, v3, vcc
	v_lshlrev_b32_e32 v1, 7, v1
	v_add_co_u32_e32 v34, vcc, v2, v1
	v_addc_co_u32_e32 v35, vcc, 0, v3, vcc
	global_load_dwordx4 v[6:9], v[34:35], off
	global_load_dwordx4 v[10:13], v[34:35], off offset:16
	global_load_dwordx4 v[14:17], v[34:35], off offset:32
	;; [unrolled: 1-line block ×3, first 2 shown]
	v_or_b32_e32 v4, s4, v0
	v_lshlrev_b64 v[30:31], 2, v[4:5]
	v_mov_b32_e32 v1, v5
	v_or_b32_e32 v0, 0x400, v4
	v_mov_b32_e32 v39, s3
	v_add_co_u32_e32 v38, vcc, s2, v30
	v_lshlrev_b64 v[0:1], 2, v[0:1]
	v_addc_co_u32_e32 v39, vcc, v39, v31, vcc
	v_mov_b32_e32 v3, v5
	v_or_b32_e32 v2, 0x500, v4
	v_mov_b32_e32 v41, s3
	v_add_co_u32_e32 v40, vcc, s2, v0
	v_lshlrev_b64 v[2:3], 2, v[2:3]
	v_addc_co_u32_e32 v41, vcc, v41, v1, vcc
	;; [unrolled: 6-line block ×4, first 2 shown]
	v_mov_b32_e32 v27, v5
	v_mov_b32_e32 v29, v5
	v_or_b32_e32 v26, 0x800, v4
	v_or_b32_e32 v28, 0x900, v4
	v_mov_b32_e32 v47, s3
	v_add_co_u32_e32 v46, vcc, s2, v24
	v_lshlrev_b64 v[32:33], 2, v[26:27]
	v_lshlrev_b64 v[36:37], 2, v[28:29]
	v_addc_co_u32_e32 v47, vcc, v47, v25, vcc
	global_load_dwordx4 v[22:25], v[34:35], off offset:80
	global_load_dwordx4 v[26:29], v[34:35], off offset:64
	v_mov_b32_e32 v49, s3
	v_add_co_u32_e32 v48, vcc, s2, v32
	v_addc_co_u32_e32 v49, vcc, v49, v33, vcc
	global_load_dwordx4 v[0:3], v[34:35], off offset:112
	global_load_dwordx4 v[30:33], v[34:35], off offset:96
	v_mov_b32_e32 v50, s3
	s_waitcnt vmcnt(7)
	global_store_dword v[38:39], v6, off
	global_store_dword v[38:39], v7, off offset:1024
	global_store_dword v[38:39], v8, off offset:2048
	;; [unrolled: 1-line block ×3, first 2 shown]
	s_waitcnt vmcnt(10)
	global_store_dword v[40:41], v10, off
	global_store_dword v[42:43], v11, off
	global_store_dword v[44:45], v12, off
	global_store_dword v[46:47], v13, off
	s_waitcnt vmcnt(13)
	global_store_dword v[48:49], v14, off
	v_add_co_u32_e32 v6, vcc, s2, v36
	v_addc_co_u32_e32 v7, vcc, v50, v37, vcc
	global_store_dword v[6:7], v15, off
	v_or_b32_e32 v6, 0xa00, v4
	v_mov_b32_e32 v7, v5
	v_lshlrev_b64 v[6:7], 2, v[6:7]
	v_mov_b32_e32 v8, s3
	v_add_co_u32_e32 v6, vcc, s2, v6
	v_addc_co_u32_e32 v7, vcc, v8, v7, vcc
	global_store_dword v[6:7], v16, off
	v_or_b32_e32 v6, 0xb00, v4
	v_mov_b32_e32 v7, v5
	v_lshlrev_b64 v[6:7], 2, v[6:7]
	v_add_co_u32_e32 v6, vcc, s2, v6
	v_addc_co_u32_e32 v7, vcc, v8, v7, vcc
	global_store_dword v[6:7], v17, off
	v_or_b32_e32 v6, 0xc00, v4
	v_mov_b32_e32 v7, v5
	v_lshlrev_b64 v[6:7], 2, v[6:7]
	v_add_co_u32_e32 v6, vcc, s2, v6
	v_addc_co_u32_e32 v7, vcc, v8, v7, vcc
	s_waitcnt vmcnt(16)
	global_store_dword v[6:7], v18, off
	v_or_b32_e32 v6, 0xd00, v4
	v_mov_b32_e32 v7, v5
	v_lshlrev_b64 v[6:7], 2, v[6:7]
	v_add_co_u32_e32 v6, vcc, s2, v6
	v_addc_co_u32_e32 v7, vcc, v8, v7, vcc
	global_store_dword v[6:7], v19, off
	v_or_b32_e32 v6, 0xe00, v4
	v_mov_b32_e32 v7, v5
	v_lshlrev_b64 v[6:7], 2, v[6:7]
	v_add_co_u32_e32 v6, vcc, s2, v6
	v_addc_co_u32_e32 v7, vcc, v8, v7, vcc
	;; [unrolled: 6-line block ×4, first 2 shown]
	s_waitcnt vmcnt(18)
	global_store_dword v[6:7], v26, off
	v_or_b32_e32 v6, 0x1100, v4
	v_mov_b32_e32 v7, v5
	v_lshlrev_b64 v[6:7], 2, v[6:7]
	v_add_co_u32_e32 v6, vcc, s2, v6
	v_addc_co_u32_e32 v7, vcc, v8, v7, vcc
	global_store_dword v[6:7], v27, off
	v_or_b32_e32 v6, 0x1200, v4
	v_mov_b32_e32 v7, v5
	v_lshlrev_b64 v[6:7], 2, v[6:7]
	v_add_co_u32_e32 v6, vcc, s2, v6
	v_addc_co_u32_e32 v7, vcc, v8, v7, vcc
	;; [unrolled: 6-line block ×8, first 2 shown]
	s_waitcnt vmcnt(24)
	global_store_dword v[6:7], v30, off
	v_or_b32_e32 v6, 0x1900, v4
	v_mov_b32_e32 v7, v5
	v_lshlrev_b64 v[6:7], 2, v[6:7]
	v_add_co_u32_e32 v6, vcc, s2, v6
	v_addc_co_u32_e32 v7, vcc, v8, v7, vcc
	global_store_dword v[6:7], v31, off
	v_or_b32_e32 v6, 0x1a00, v4
	v_mov_b32_e32 v7, v5
	v_lshlrev_b64 v[6:7], 2, v[6:7]
	v_add_co_u32_e32 v6, vcc, s2, v6
	v_addc_co_u32_e32 v7, vcc, v8, v7, vcc
	;; [unrolled: 6-line block ×4, first 2 shown]
	global_store_dword v[6:7], v0, off
	v_or_b32_e32 v6, 0x1d00, v4
	v_mov_b32_e32 v7, v5
	v_lshlrev_b64 v[6:7], 2, v[6:7]
	v_mov_b32_e32 v0, s3
	v_add_co_u32_e32 v6, vcc, s2, v6
	v_addc_co_u32_e32 v7, vcc, v0, v7, vcc
	global_store_dword v[6:7], v1, off
	v_or_b32_e32 v0, 0x1e00, v4
	v_mov_b32_e32 v1, v5
	v_lshlrev_b64 v[0:1], 2, v[0:1]
	v_mov_b32_e32 v6, s3
	v_add_co_u32_e32 v0, vcc, s2, v0
	v_addc_co_u32_e32 v1, vcc, v6, v1, vcc
	v_or_b32_e32 v4, 0x1f00, v4
	global_store_dword v[0:1], v2, off
	v_lshlrev_b64 v[0:1], 2, v[4:5]
	v_mov_b32_e32 v2, s3
	v_add_co_u32_e32 v0, vcc, s2, v0
	v_addc_co_u32_e32 v1, vcc, v2, v1, vcc
	global_store_dword v[0:1], v3, off
	s_endpgm
	.section	.rodata,"a",@progbits
	.p2align	6, 0x0
	.amdhsa_kernel _Z16warp_load_kernelILj256ELj32ELj64ELN6hipcub17WarpLoadAlgorithmE2EiEvPT3_S3_
		.amdhsa_group_segment_fixed_size 0
		.amdhsa_private_segment_fixed_size 0
		.amdhsa_kernarg_size 16
		.amdhsa_user_sgpr_count 6
		.amdhsa_user_sgpr_private_segment_buffer 1
		.amdhsa_user_sgpr_dispatch_ptr 0
		.amdhsa_user_sgpr_queue_ptr 0
		.amdhsa_user_sgpr_kernarg_segment_ptr 1
		.amdhsa_user_sgpr_dispatch_id 0
		.amdhsa_user_sgpr_flat_scratch_init 0
		.amdhsa_user_sgpr_kernarg_preload_length 0
		.amdhsa_user_sgpr_kernarg_preload_offset 0
		.amdhsa_user_sgpr_private_segment_size 0
		.amdhsa_uses_dynamic_stack 0
		.amdhsa_system_sgpr_private_segment_wavefront_offset 0
		.amdhsa_system_sgpr_workgroup_id_x 1
		.amdhsa_system_sgpr_workgroup_id_y 0
		.amdhsa_system_sgpr_workgroup_id_z 0
		.amdhsa_system_sgpr_workgroup_info 0
		.amdhsa_system_vgpr_workitem_id 0
		.amdhsa_next_free_vgpr 51
		.amdhsa_next_free_sgpr 7
		.amdhsa_accum_offset 52
		.amdhsa_reserve_vcc 1
		.amdhsa_reserve_flat_scratch 0
		.amdhsa_float_round_mode_32 0
		.amdhsa_float_round_mode_16_64 0
		.amdhsa_float_denorm_mode_32 3
		.amdhsa_float_denorm_mode_16_64 3
		.amdhsa_dx10_clamp 1
		.amdhsa_ieee_mode 1
		.amdhsa_fp16_overflow 0
		.amdhsa_tg_split 0
		.amdhsa_exception_fp_ieee_invalid_op 0
		.amdhsa_exception_fp_denorm_src 0
		.amdhsa_exception_fp_ieee_div_zero 0
		.amdhsa_exception_fp_ieee_overflow 0
		.amdhsa_exception_fp_ieee_underflow 0
		.amdhsa_exception_fp_ieee_inexact 0
		.amdhsa_exception_int_div_zero 0
	.end_amdhsa_kernel
	.section	.text._Z16warp_load_kernelILj256ELj32ELj64ELN6hipcub17WarpLoadAlgorithmE2EiEvPT3_S3_,"axG",@progbits,_Z16warp_load_kernelILj256ELj32ELj64ELN6hipcub17WarpLoadAlgorithmE2EiEvPT3_S3_,comdat
.Lfunc_end51:
	.size	_Z16warp_load_kernelILj256ELj32ELj64ELN6hipcub17WarpLoadAlgorithmE2EiEvPT3_S3_, .Lfunc_end51-_Z16warp_load_kernelILj256ELj32ELj64ELN6hipcub17WarpLoadAlgorithmE2EiEvPT3_S3_
                                        ; -- End function
	.section	.AMDGPU.csdata,"",@progbits
; Kernel info:
; codeLenInByte = 1276
; NumSgprs: 11
; NumVgprs: 51
; NumAgprs: 0
; TotalNumVgprs: 51
; ScratchSize: 0
; MemoryBound: 0
; FloatMode: 240
; IeeeMode: 1
; LDSByteSize: 0 bytes/workgroup (compile time only)
; SGPRBlocks: 1
; VGPRBlocks: 6
; NumSGPRsForWavesPerEU: 11
; NumVGPRsForWavesPerEU: 51
; AccumOffset: 52
; Occupancy: 8
; WaveLimiterHint : 1
; COMPUTE_PGM_RSRC2:SCRATCH_EN: 0
; COMPUTE_PGM_RSRC2:USER_SGPR: 6
; COMPUTE_PGM_RSRC2:TRAP_HANDLER: 0
; COMPUTE_PGM_RSRC2:TGID_X_EN: 1
; COMPUTE_PGM_RSRC2:TGID_Y_EN: 0
; COMPUTE_PGM_RSRC2:TGID_Z_EN: 0
; COMPUTE_PGM_RSRC2:TIDIG_COMP_CNT: 0
; COMPUTE_PGM_RSRC3_GFX90A:ACCUM_OFFSET: 12
; COMPUTE_PGM_RSRC3_GFX90A:TG_SPLIT: 0
	.section	.text._Z16warp_load_kernelILj256ELj32ELj64ELN6hipcub17WarpLoadAlgorithmE3EiEvPT3_S3_,"axG",@progbits,_Z16warp_load_kernelILj256ELj32ELj64ELN6hipcub17WarpLoadAlgorithmE3EiEvPT3_S3_,comdat
	.protected	_Z16warp_load_kernelILj256ELj32ELj64ELN6hipcub17WarpLoadAlgorithmE3EiEvPT3_S3_ ; -- Begin function _Z16warp_load_kernelILj256ELj32ELj64ELN6hipcub17WarpLoadAlgorithmE3EiEvPT3_S3_
	.globl	_Z16warp_load_kernelILj256ELj32ELj64ELN6hipcub17WarpLoadAlgorithmE3EiEvPT3_S3_
	.p2align	8
	.type	_Z16warp_load_kernelILj256ELj32ELj64ELN6hipcub17WarpLoadAlgorithmE3EiEvPT3_S3_,@function
_Z16warp_load_kernelILj256ELj32ELj64ELN6hipcub17WarpLoadAlgorithmE3EiEvPT3_S3_: ; @_Z16warp_load_kernelILj256ELj32ELj64ELN6hipcub17WarpLoadAlgorithmE3EiEvPT3_S3_
; %bb.0:
	s_load_dwordx4 s[0:3], s[4:5], 0x0
	v_lshrrev_b32_e32 v1, 6, v0
	s_lshl_b32 s4, s6, 13
	v_mbcnt_lo_u32_b32 v2, -1, 0
	v_lshl_or_b32 v10, v1, 11, s4
	v_mov_b32_e32 v11, 0
	v_mbcnt_hi_u32_b32 v4, -1, v2
	v_lshlrev_b64 v[2:3], 2, v[10:11]
	s_waitcnt lgkmcnt(0)
	v_mov_b32_e32 v5, s1
	v_add_co_u32_e32 v2, vcc, s0, v2
	v_addc_co_u32_e32 v3, vcc, v5, v3, vcc
	v_lshlrev_b32_e32 v5, 2, v4
	v_add_co_u32_e32 v2, vcc, v2, v5
	v_lshlrev_b32_e32 v4, 7, v4
	v_addc_co_u32_e32 v3, vcc, 0, v3, vcc
	v_and_b32_e32 v6, 0x2000, v4
	v_add_co_u32_e32 v2, vcc, v2, v6
	v_addc_co_u32_e32 v3, vcc, 0, v3, vcc
	s_movk_i32 s0, 0x1000
	global_load_dword v6, v[2:3], off
	global_load_dword v7, v[2:3], off offset:256
	global_load_dword v8, v[2:3], off offset:512
	;; [unrolled: 1-line block ×15, first 2 shown]
	v_add_co_u32_e32 v2, vcc, s0, v2
	v_addc_co_u32_e32 v3, vcc, 0, v3, vcc
	global_load_dword v23, v[2:3], off
	global_load_dword v24, v[2:3], off offset:256
	global_load_dword v25, v[2:3], off offset:512
	;; [unrolled: 1-line block ×14, first 2 shown]
	s_nop 0
	global_load_dword v2, v[2:3], off offset:3840
	v_lshlrev_b32_e32 v1, 13, v1
	v_or_b32_e32 v3, v1, v5
	v_add_u32_e32 v1, v1, v4
	s_waitcnt vmcnt(30)
	ds_write2st64_b32 v3, v6, v7 offset1:1
	s_waitcnt vmcnt(28)
	ds_write2st64_b32 v3, v8, v9 offset0:2 offset1:3
	s_waitcnt vmcnt(26)
	ds_write2st64_b32 v3, v10, v12 offset0:4 offset1:5
	;; [unrolled: 2-line block ×15, first 2 shown]
	v_or_b32_e32 v10, s4, v0
	; wave barrier
	ds_read_b128 v[12:15], v1
	ds_read_b128 v[16:19], v1 offset:16
	ds_read_b128 v[20:23], v1 offset:32
	;; [unrolled: 1-line block ×7, first 2 shown]
	v_lshlrev_b64 v[0:1], 2, v[10:11]
	v_mov_b32_e32 v36, s3
	v_add_co_u32_e32 v0, vcc, s2, v0
	v_addc_co_u32_e32 v1, vcc, v36, v1, vcc
	s_waitcnt lgkmcnt(7)
	global_store_dword v[0:1], v12, off
	global_store_dword v[0:1], v13, off offset:1024
	global_store_dword v[0:1], v14, off offset:2048
	;; [unrolled: 1-line block ×3, first 2 shown]
	v_or_b32_e32 v0, 0x400, v10
	v_mov_b32_e32 v1, v11
	v_lshlrev_b64 v[0:1], 2, v[0:1]
	v_mov_b32_e32 v12, s3
	v_add_co_u32_e32 v0, vcc, s2, v0
	v_addc_co_u32_e32 v1, vcc, v12, v1, vcc
	s_waitcnt lgkmcnt(6)
	global_store_dword v[0:1], v16, off
	v_or_b32_e32 v0, 0x500, v10
	v_mov_b32_e32 v1, v11
	v_lshlrev_b64 v[0:1], 2, v[0:1]
	v_add_co_u32_e32 v0, vcc, s2, v0
	v_addc_co_u32_e32 v1, vcc, v12, v1, vcc
	global_store_dword v[0:1], v17, off
	v_or_b32_e32 v0, 0x600, v10
	v_mov_b32_e32 v1, v11
	v_lshlrev_b64 v[0:1], 2, v[0:1]
	v_add_co_u32_e32 v0, vcc, s2, v0
	v_addc_co_u32_e32 v1, vcc, v12, v1, vcc
	global_store_dword v[0:1], v18, off
	v_or_b32_e32 v0, 0x700, v10
	v_mov_b32_e32 v1, v11
	v_lshlrev_b64 v[0:1], 2, v[0:1]
	v_add_co_u32_e32 v0, vcc, s2, v0
	v_addc_co_u32_e32 v1, vcc, v12, v1, vcc
	global_store_dword v[0:1], v19, off
	v_or_b32_e32 v0, 0x800, v10
	v_mov_b32_e32 v1, v11
	v_lshlrev_b64 v[0:1], 2, v[0:1]
	v_add_co_u32_e32 v0, vcc, s2, v0
	v_addc_co_u32_e32 v1, vcc, v12, v1, vcc
	s_waitcnt lgkmcnt(5)
	global_store_dword v[0:1], v20, off
	v_or_b32_e32 v0, 0x900, v10
	v_mov_b32_e32 v1, v11
	v_lshlrev_b64 v[0:1], 2, v[0:1]
	v_add_co_u32_e32 v0, vcc, s2, v0
	v_addc_co_u32_e32 v1, vcc, v12, v1, vcc
	global_store_dword v[0:1], v21, off
	v_or_b32_e32 v0, 0xa00, v10
	v_mov_b32_e32 v1, v11
	v_lshlrev_b64 v[0:1], 2, v[0:1]
	v_add_co_u32_e32 v0, vcc, s2, v0
	v_addc_co_u32_e32 v1, vcc, v12, v1, vcc
	global_store_dword v[0:1], v22, off
	v_or_b32_e32 v0, 0xb00, v10
	v_mov_b32_e32 v1, v11
	v_lshlrev_b64 v[0:1], 2, v[0:1]
	v_add_co_u32_e32 v0, vcc, s2, v0
	v_addc_co_u32_e32 v1, vcc, v12, v1, vcc
	global_store_dword v[0:1], v23, off
	v_or_b32_e32 v0, 0xc00, v10
	v_mov_b32_e32 v1, v11
	v_lshlrev_b64 v[0:1], 2, v[0:1]
	;; [unrolled: 25-line block ×5, first 2 shown]
	v_add_co_u32_e32 v0, vcc, s2, v0
	v_addc_co_u32_e32 v1, vcc, v12, v1, vcc
	s_waitcnt lgkmcnt(1)
	global_store_dword v[0:1], v6, off
	v_or_b32_e32 v0, 0x1900, v10
	v_mov_b32_e32 v1, v11
	v_lshlrev_b64 v[0:1], 2, v[0:1]
	v_mov_b32_e32 v6, s3
	v_add_co_u32_e32 v0, vcc, s2, v0
	v_addc_co_u32_e32 v1, vcc, v6, v1, vcc
	global_store_dword v[0:1], v7, off
	v_or_b32_e32 v0, 0x1a00, v10
	v_mov_b32_e32 v1, v11
	v_lshlrev_b64 v[0:1], 2, v[0:1]
	v_add_co_u32_e32 v0, vcc, s2, v0
	v_addc_co_u32_e32 v1, vcc, v6, v1, vcc
	global_store_dword v[0:1], v8, off
	v_or_b32_e32 v0, 0x1b00, v10
	v_mov_b32_e32 v1, v11
	v_lshlrev_b64 v[0:1], 2, v[0:1]
	v_add_co_u32_e32 v0, vcc, s2, v0
	v_addc_co_u32_e32 v1, vcc, v6, v1, vcc
	global_store_dword v[0:1], v9, off
	v_or_b32_e32 v0, 0x1c00, v10
	v_mov_b32_e32 v1, v11
	v_lshlrev_b64 v[0:1], 2, v[0:1]
	v_add_co_u32_e32 v0, vcc, s2, v0
	v_addc_co_u32_e32 v1, vcc, v6, v1, vcc
	s_waitcnt lgkmcnt(0)
	global_store_dword v[0:1], v2, off
	v_or_b32_e32 v0, 0x1d00, v10
	v_mov_b32_e32 v1, v11
	v_lshlrev_b64 v[0:1], 2, v[0:1]
	v_mov_b32_e32 v2, s3
	v_add_co_u32_e32 v0, vcc, s2, v0
	v_addc_co_u32_e32 v1, vcc, v2, v1, vcc
	global_store_dword v[0:1], v3, off
	v_or_b32_e32 v0, 0x1e00, v10
	v_mov_b32_e32 v1, v11
	v_lshlrev_b64 v[0:1], 2, v[0:1]
	v_add_co_u32_e32 v0, vcc, s2, v0
	v_addc_co_u32_e32 v1, vcc, v2, v1, vcc
	v_or_b32_e32 v10, 0x1f00, v10
	global_store_dword v[0:1], v4, off
	v_lshlrev_b64 v[0:1], 2, v[10:11]
	v_add_co_u32_e32 v0, vcc, s2, v0
	v_addc_co_u32_e32 v1, vcc, v2, v1, vcc
	global_store_dword v[0:1], v5, off
	s_endpgm
	.section	.rodata,"a",@progbits
	.p2align	6, 0x0
	.amdhsa_kernel _Z16warp_load_kernelILj256ELj32ELj64ELN6hipcub17WarpLoadAlgorithmE3EiEvPT3_S3_
		.amdhsa_group_segment_fixed_size 32768
		.amdhsa_private_segment_fixed_size 0
		.amdhsa_kernarg_size 16
		.amdhsa_user_sgpr_count 6
		.amdhsa_user_sgpr_private_segment_buffer 1
		.amdhsa_user_sgpr_dispatch_ptr 0
		.amdhsa_user_sgpr_queue_ptr 0
		.amdhsa_user_sgpr_kernarg_segment_ptr 1
		.amdhsa_user_sgpr_dispatch_id 0
		.amdhsa_user_sgpr_flat_scratch_init 0
		.amdhsa_user_sgpr_kernarg_preload_length 0
		.amdhsa_user_sgpr_kernarg_preload_offset 0
		.amdhsa_user_sgpr_private_segment_size 0
		.amdhsa_uses_dynamic_stack 0
		.amdhsa_system_sgpr_private_segment_wavefront_offset 0
		.amdhsa_system_sgpr_workgroup_id_x 1
		.amdhsa_system_sgpr_workgroup_id_y 0
		.amdhsa_system_sgpr_workgroup_id_z 0
		.amdhsa_system_sgpr_workgroup_info 0
		.amdhsa_system_vgpr_workitem_id 0
		.amdhsa_next_free_vgpr 38
		.amdhsa_next_free_sgpr 7
		.amdhsa_accum_offset 40
		.amdhsa_reserve_vcc 1
		.amdhsa_reserve_flat_scratch 0
		.amdhsa_float_round_mode_32 0
		.amdhsa_float_round_mode_16_64 0
		.amdhsa_float_denorm_mode_32 3
		.amdhsa_float_denorm_mode_16_64 3
		.amdhsa_dx10_clamp 1
		.amdhsa_ieee_mode 1
		.amdhsa_fp16_overflow 0
		.amdhsa_tg_split 0
		.amdhsa_exception_fp_ieee_invalid_op 0
		.amdhsa_exception_fp_denorm_src 0
		.amdhsa_exception_fp_ieee_div_zero 0
		.amdhsa_exception_fp_ieee_overflow 0
		.amdhsa_exception_fp_ieee_underflow 0
		.amdhsa_exception_fp_ieee_inexact 0
		.amdhsa_exception_int_div_zero 0
	.end_amdhsa_kernel
	.section	.text._Z16warp_load_kernelILj256ELj32ELj64ELN6hipcub17WarpLoadAlgorithmE3EiEvPT3_S3_,"axG",@progbits,_Z16warp_load_kernelILj256ELj32ELj64ELN6hipcub17WarpLoadAlgorithmE3EiEvPT3_S3_,comdat
.Lfunc_end52:
	.size	_Z16warp_load_kernelILj256ELj32ELj64ELN6hipcub17WarpLoadAlgorithmE3EiEvPT3_S3_, .Lfunc_end52-_Z16warp_load_kernelILj256ELj32ELj64ELN6hipcub17WarpLoadAlgorithmE3EiEvPT3_S3_
                                        ; -- End function
	.section	.AMDGPU.csdata,"",@progbits
; Kernel info:
; codeLenInByte = 1748
; NumSgprs: 11
; NumVgprs: 38
; NumAgprs: 0
; TotalNumVgprs: 38
; ScratchSize: 0
; MemoryBound: 0
; FloatMode: 240
; IeeeMode: 1
; LDSByteSize: 32768 bytes/workgroup (compile time only)
; SGPRBlocks: 1
; VGPRBlocks: 4
; NumSGPRsForWavesPerEU: 11
; NumVGPRsForWavesPerEU: 38
; AccumOffset: 40
; Occupancy: 2
; WaveLimiterHint : 1
; COMPUTE_PGM_RSRC2:SCRATCH_EN: 0
; COMPUTE_PGM_RSRC2:USER_SGPR: 6
; COMPUTE_PGM_RSRC2:TRAP_HANDLER: 0
; COMPUTE_PGM_RSRC2:TGID_X_EN: 1
; COMPUTE_PGM_RSRC2:TGID_Y_EN: 0
; COMPUTE_PGM_RSRC2:TGID_Z_EN: 0
; COMPUTE_PGM_RSRC2:TIDIG_COMP_CNT: 0
; COMPUTE_PGM_RSRC3_GFX90A:ACCUM_OFFSET: 9
; COMPUTE_PGM_RSRC3_GFX90A:TG_SPLIT: 0
	.section	.text._Z16warp_load_kernelILj256ELj64ELj64ELN6hipcub17WarpLoadAlgorithmE0EiEvPT3_S3_,"axG",@progbits,_Z16warp_load_kernelILj256ELj64ELj64ELN6hipcub17WarpLoadAlgorithmE0EiEvPT3_S3_,comdat
	.protected	_Z16warp_load_kernelILj256ELj64ELj64ELN6hipcub17WarpLoadAlgorithmE0EiEvPT3_S3_ ; -- Begin function _Z16warp_load_kernelILj256ELj64ELj64ELN6hipcub17WarpLoadAlgorithmE0EiEvPT3_S3_
	.globl	_Z16warp_load_kernelILj256ELj64ELj64ELN6hipcub17WarpLoadAlgorithmE0EiEvPT3_S3_
	.p2align	8
	.type	_Z16warp_load_kernelILj256ELj64ELj64ELN6hipcub17WarpLoadAlgorithmE0EiEvPT3_S3_,@function
_Z16warp_load_kernelILj256ELj64ELj64ELN6hipcub17WarpLoadAlgorithmE0EiEvPT3_S3_: ; @_Z16warp_load_kernelILj256ELj64ELj64ELN6hipcub17WarpLoadAlgorithmE0EiEvPT3_S3_
; %bb.0:
	s_load_dwordx4 s[0:3], s[4:5], 0x0
	v_lshlrev_b32_e32 v2, 6, v0
	s_lshl_b32 s4, s6, 14
	v_and_b32_e32 v2, 0x3000, v2
	v_or_b32_e32 v44, s4, v2
	v_mov_b32_e32 v45, 0
	v_mbcnt_lo_u32_b32 v1, -1, 0
	v_lshlrev_b64 v[2:3], 2, v[44:45]
	v_mbcnt_hi_u32_b32 v1, -1, v1
	s_waitcnt lgkmcnt(0)
	v_mov_b32_e32 v4, s1
	v_add_co_u32_e32 v2, vcc, s0, v2
	v_addc_co_u32_e32 v3, vcc, v4, v3, vcc
	v_lshlrev_b32_e32 v1, 8, v1
	v_add_co_u32_e32 v66, vcc, v2, v1
	v_addc_co_u32_e32 v67, vcc, 0, v3, vcc
	global_load_dwordx4 v[46:49], v[66:67], off
	global_load_dwordx4 v[50:53], v[66:67], off offset:16
	v_or_b32_e32 v44, s4, v0
	v_lshlrev_b64 v[0:1], 2, v[44:45]
	v_mov_b32_e32 v2, s3
	v_add_co_u32_e32 v68, vcc, s2, v0
	v_addc_co_u32_e32 v69, vcc, v2, v1, vcc
	global_load_dwordx4 v[54:57], v[66:67], off offset:48
	global_load_dwordx4 v[58:61], v[66:67], off offset:32
	;; [unrolled: 1-line block ×14, first 2 shown]
	v_mov_b32_e32 v66, s3
	v_mov_b32_e32 v67, v45
	;; [unrolled: 1-line block ×3, first 2 shown]
	s_waitcnt vmcnt(15)
	global_store_dword v[68:69], v46, off
	global_store_dword v[68:69], v47, off offset:1024
	global_store_dword v[68:69], v48, off offset:2048
	;; [unrolled: 1-line block ×3, first 2 shown]
	v_mov_b32_e32 v47, v45
	v_or_b32_e32 v46, 0x400, v44
	v_lshlrev_b64 v[46:47], 2, v[46:47]
	v_mov_b32_e32 v48, s3
	v_add_co_u32_e32 v46, vcc, s2, v46
	v_addc_co_u32_e32 v47, vcc, v48, v47, vcc
	v_mov_b32_e32 v49, v45
	v_or_b32_e32 v48, 0x500, v44
	v_lshlrev_b64 v[48:49], 2, v[48:49]
	v_add_co_u32_e32 v48, vcc, s2, v48
	v_addc_co_u32_e32 v49, vcc, v66, v49, vcc
	v_or_b32_e32 v66, 0x600, v44
	v_lshlrev_b64 v[66:67], 2, v[66:67]
	v_mov_b32_e32 v68, s3
	v_add_co_u32_e32 v66, vcc, s2, v66
	v_addc_co_u32_e32 v67, vcc, v68, v67, vcc
	v_mov_b32_e32 v69, v45
	v_or_b32_e32 v68, 0x700, v44
	v_lshlrev_b64 v[68:69], 2, v[68:69]
	v_add_co_u32_e32 v68, vcc, s2, v68
	s_waitcnt vmcnt(18)
	global_store_dword v[46:47], v50, off
	global_store_dword v[48:49], v51, off
	v_mov_b32_e32 v47, v45
	v_or_b32_e32 v46, 0x800, v44
	v_addc_co_u32_e32 v69, vcc, v70, v69, vcc
	v_lshlrev_b64 v[46:47], 2, v[46:47]
	v_mov_b32_e32 v48, s3
	v_add_co_u32_e32 v46, vcc, s2, v46
	v_addc_co_u32_e32 v47, vcc, v48, v47, vcc
	v_or_b32_e32 v48, 0x900, v44
	v_mov_b32_e32 v49, v45
	v_lshlrev_b64 v[48:49], 2, v[48:49]
	v_mov_b32_e32 v50, s3
	v_add_co_u32_e32 v48, vcc, s2, v48
	v_addc_co_u32_e32 v49, vcc, v50, v49, vcc
	v_or_b32_e32 v50, 0xa00, v44
	v_mov_b32_e32 v51, v45
	v_lshlrev_b64 v[50:51], 2, v[50:51]
	global_store_dword v[66:67], v52, off
	v_mov_b32_e32 v52, s3
	v_add_co_u32_e32 v50, vcc, s2, v50
	global_store_dword v[68:69], v53, off
	v_addc_co_u32_e32 v51, vcc, v52, v51, vcc
	v_or_b32_e32 v52, 0xb00, v44
	v_mov_b32_e32 v53, v45
	v_lshlrev_b64 v[52:53], 2, v[52:53]
	v_mov_b32_e32 v66, s3
	v_add_co_u32_e32 v52, vcc, s2, v52
	v_addc_co_u32_e32 v53, vcc, v66, v53, vcc
	s_waitcnt vmcnt(20)
	global_store_dword v[46:47], v58, off
	global_store_dword v[48:49], v59, off
	;; [unrolled: 1-line block ×4, first 2 shown]
	v_or_b32_e32 v46, 0xc00, v44
	v_mov_b32_e32 v47, v45
	v_lshlrev_b64 v[46:47], 2, v[46:47]
	v_mov_b32_e32 v48, s3
	v_add_co_u32_e32 v46, vcc, s2, v46
	v_addc_co_u32_e32 v47, vcc, v48, v47, vcc
	v_or_b32_e32 v48, 0xd00, v44
	v_mov_b32_e32 v49, v45
	v_lshlrev_b64 v[48:49], 2, v[48:49]
	v_mov_b32_e32 v50, s3
	v_add_co_u32_e32 v48, vcc, s2, v48
	v_addc_co_u32_e32 v49, vcc, v50, v49, vcc
	;; [unrolled: 6-line block ×4, first 2 shown]
	global_store_dword v[46:47], v54, off
	global_store_dword v[48:49], v55, off
	global_store_dword v[50:51], v56, off
	global_store_dword v[52:53], v57, off
	v_or_b32_e32 v46, 0x1000, v44
	v_mov_b32_e32 v47, v45
	v_lshlrev_b64 v[46:47], 2, v[46:47]
	v_mov_b32_e32 v48, s3
	v_add_co_u32_e32 v46, vcc, s2, v46
	v_addc_co_u32_e32 v47, vcc, v48, v47, vcc
	v_or_b32_e32 v48, 0x1100, v44
	v_mov_b32_e32 v49, v45
	v_lshlrev_b64 v[48:49], 2, v[48:49]
	v_mov_b32_e32 v50, s3
	v_add_co_u32_e32 v48, vcc, s2, v48
	v_addc_co_u32_e32 v49, vcc, v50, v49, vcc
	;; [unrolled: 6-line block ×4, first 2 shown]
	s_waitcnt vmcnt(24)
	global_store_dword v[46:47], v62, off
	global_store_dword v[48:49], v63, off
	;; [unrolled: 1-line block ×4, first 2 shown]
	v_or_b32_e32 v46, 0x1400, v44
	v_mov_b32_e32 v47, v45
	v_lshlrev_b64 v[46:47], 2, v[46:47]
	v_mov_b32_e32 v48, s3
	v_add_co_u32_e32 v46, vcc, s2, v46
	v_addc_co_u32_e32 v47, vcc, v48, v47, vcc
	global_store_dword v[46:47], v40, off
	v_or_b32_e32 v46, 0x1500, v44
	v_mov_b32_e32 v47, v45
	v_lshlrev_b64 v[46:47], 2, v[46:47]
	v_mov_b32_e32 v40, s3
	v_add_co_u32_e32 v46, vcc, s2, v46
	v_addc_co_u32_e32 v47, vcc, v40, v47, vcc
	global_store_dword v[46:47], v41, off
	;; [unrolled: 7-line block ×4, first 2 shown]
	v_or_b32_e32 v40, 0x1800, v44
	v_mov_b32_e32 v41, v45
	v_lshlrev_b64 v[40:41], 2, v[40:41]
	v_add_co_u32_e32 v40, vcc, s2, v40
	v_addc_co_u32_e32 v41, vcc, v42, v41, vcc
	global_store_dword v[40:41], v36, off
	v_or_b32_e32 v40, 0x1900, v44
	v_mov_b32_e32 v41, v45
	v_lshlrev_b64 v[40:41], 2, v[40:41]
	v_mov_b32_e32 v36, s3
	v_add_co_u32_e32 v40, vcc, s2, v40
	v_addc_co_u32_e32 v41, vcc, v36, v41, vcc
	global_store_dword v[40:41], v37, off
	v_or_b32_e32 v36, 0x1a00, v44
	v_mov_b32_e32 v37, v45
	v_lshlrev_b64 v[36:37], 2, v[36:37]
	v_mov_b32_e32 v40, s3
	;; [unrolled: 7-line block ×3, first 2 shown]
	v_add_co_u32_e32 v36, vcc, s2, v36
	v_addc_co_u32_e32 v37, vcc, v38, v37, vcc
	global_store_dword v[36:37], v39, off
	v_or_b32_e32 v36, 0x1c00, v44
	v_mov_b32_e32 v37, v45
	v_lshlrev_b64 v[36:37], 2, v[36:37]
	v_add_co_u32_e32 v36, vcc, s2, v36
	v_addc_co_u32_e32 v37, vcc, v38, v37, vcc
	global_store_dword v[36:37], v32, off
	v_or_b32_e32 v36, 0x1d00, v44
	v_mov_b32_e32 v37, v45
	v_lshlrev_b64 v[36:37], 2, v[36:37]
	v_mov_b32_e32 v32, s3
	v_add_co_u32_e32 v36, vcc, s2, v36
	v_addc_co_u32_e32 v37, vcc, v32, v37, vcc
	global_store_dword v[36:37], v33, off
	v_or_b32_e32 v32, 0x1e00, v44
	v_mov_b32_e32 v33, v45
	v_lshlrev_b64 v[32:33], 2, v[32:33]
	v_mov_b32_e32 v36, s3
	;; [unrolled: 7-line block ×3, first 2 shown]
	v_add_co_u32_e32 v32, vcc, s2, v32
	v_addc_co_u32_e32 v33, vcc, v34, v33, vcc
	global_store_dword v[32:33], v35, off
	v_or_b32_e32 v32, 0x2000, v44
	v_mov_b32_e32 v33, v45
	v_lshlrev_b64 v[32:33], 2, v[32:33]
	v_add_co_u32_e32 v32, vcc, s2, v32
	v_addc_co_u32_e32 v33, vcc, v34, v33, vcc
	s_waitcnt vmcnt(36)
	global_store_dword v[32:33], v28, off
	v_or_b32_e32 v32, 0x2100, v44
	v_mov_b32_e32 v33, v45
	v_lshlrev_b64 v[32:33], 2, v[32:33]
	v_mov_b32_e32 v28, s3
	v_add_co_u32_e32 v32, vcc, s2, v32
	v_addc_co_u32_e32 v33, vcc, v28, v33, vcc
	global_store_dword v[32:33], v29, off
	v_or_b32_e32 v28, 0x2200, v44
	v_mov_b32_e32 v29, v45
	v_lshlrev_b64 v[28:29], 2, v[28:29]
	v_mov_b32_e32 v32, s3
	v_add_co_u32_e32 v28, vcc, s2, v28
	v_addc_co_u32_e32 v29, vcc, v32, v29, vcc
	global_store_dword v[28:29], v30, off
	v_or_b32_e32 v28, 0x2300, v44
	v_mov_b32_e32 v29, v45
	v_lshlrev_b64 v[28:29], 2, v[28:29]
	v_mov_b32_e32 v30, s3
	v_add_co_u32_e32 v28, vcc, s2, v28
	v_addc_co_u32_e32 v29, vcc, v30, v29, vcc
	global_store_dword v[28:29], v31, off
	v_or_b32_e32 v28, 0x2400, v44
	v_mov_b32_e32 v29, v45
	v_lshlrev_b64 v[28:29], 2, v[28:29]
	v_add_co_u32_e32 v28, vcc, s2, v28
	v_addc_co_u32_e32 v29, vcc, v30, v29, vcc
	global_store_dword v[28:29], v24, off
	v_or_b32_e32 v28, 0x2500, v44
	v_mov_b32_e32 v29, v45
	v_lshlrev_b64 v[28:29], 2, v[28:29]
	v_mov_b32_e32 v24, s3
	v_add_co_u32_e32 v28, vcc, s2, v28
	v_addc_co_u32_e32 v29, vcc, v24, v29, vcc
	global_store_dword v[28:29], v25, off
	v_or_b32_e32 v24, 0x2600, v44
	v_mov_b32_e32 v25, v45
	v_lshlrev_b64 v[24:25], 2, v[24:25]
	v_mov_b32_e32 v28, s3
	v_add_co_u32_e32 v24, vcc, s2, v24
	v_addc_co_u32_e32 v25, vcc, v28, v25, vcc
	global_store_dword v[24:25], v26, off
	v_or_b32_e32 v24, 0x2700, v44
	v_mov_b32_e32 v25, v45
	v_lshlrev_b64 v[24:25], 2, v[24:25]
	v_mov_b32_e32 v26, s3
	v_add_co_u32_e32 v24, vcc, s2, v24
	v_addc_co_u32_e32 v25, vcc, v26, v25, vcc
	global_store_dword v[24:25], v27, off
	v_or_b32_e32 v24, 0x2800, v44
	v_mov_b32_e32 v25, v45
	v_lshlrev_b64 v[24:25], 2, v[24:25]
	v_add_co_u32_e32 v24, vcc, s2, v24
	v_addc_co_u32_e32 v25, vcc, v26, v25, vcc
	;; [unrolled: 27-line block ×4, first 2 shown]
	s_waitcnt vmcnt(48)
	global_store_dword v[16:17], v12, off
	v_or_b32_e32 v16, 0x3100, v44
	v_mov_b32_e32 v17, v45
	v_lshlrev_b64 v[16:17], 2, v[16:17]
	v_mov_b32_e32 v12, s3
	v_add_co_u32_e32 v16, vcc, s2, v16
	v_addc_co_u32_e32 v17, vcc, v12, v17, vcc
	global_store_dword v[16:17], v13, off
	v_or_b32_e32 v12, 0x3200, v44
	v_mov_b32_e32 v13, v45
	v_lshlrev_b64 v[12:13], 2, v[12:13]
	v_mov_b32_e32 v16, s3
	v_add_co_u32_e32 v12, vcc, s2, v12
	v_addc_co_u32_e32 v13, vcc, v16, v13, vcc
	global_store_dword v[12:13], v14, off
	v_or_b32_e32 v12, 0x3300, v44
	v_mov_b32_e32 v13, v45
	v_lshlrev_b64 v[12:13], 2, v[12:13]
	v_mov_b32_e32 v14, s3
	v_add_co_u32_e32 v12, vcc, s2, v12
	v_addc_co_u32_e32 v13, vcc, v14, v13, vcc
	global_store_dword v[12:13], v15, off
	v_or_b32_e32 v12, 0x3400, v44
	v_mov_b32_e32 v13, v45
	v_lshlrev_b64 v[12:13], 2, v[12:13]
	v_add_co_u32_e32 v12, vcc, s2, v12
	v_addc_co_u32_e32 v13, vcc, v14, v13, vcc
	global_store_dword v[12:13], v8, off
	v_or_b32_e32 v12, 0x3500, v44
	v_mov_b32_e32 v13, v45
	v_lshlrev_b64 v[12:13], 2, v[12:13]
	v_mov_b32_e32 v8, s3
	v_add_co_u32_e32 v12, vcc, s2, v12
	v_addc_co_u32_e32 v13, vcc, v8, v13, vcc
	global_store_dword v[12:13], v9, off
	v_or_b32_e32 v8, 0x3600, v44
	v_mov_b32_e32 v9, v45
	v_lshlrev_b64 v[8:9], 2, v[8:9]
	v_mov_b32_e32 v12, s3
	v_add_co_u32_e32 v8, vcc, s2, v8
	v_addc_co_u32_e32 v9, vcc, v12, v9, vcc
	global_store_dword v[8:9], v10, off
	v_or_b32_e32 v8, 0x3700, v44
	v_mov_b32_e32 v9, v45
	v_lshlrev_b64 v[8:9], 2, v[8:9]
	v_mov_b32_e32 v10, s3
	v_add_co_u32_e32 v8, vcc, s2, v8
	v_addc_co_u32_e32 v9, vcc, v10, v9, vcc
	global_store_dword v[8:9], v11, off
	v_or_b32_e32 v8, 0x3800, v44
	v_mov_b32_e32 v9, v45
	v_lshlrev_b64 v[8:9], 2, v[8:9]
	v_add_co_u32_e32 v8, vcc, s2, v8
	v_addc_co_u32_e32 v9, vcc, v10, v9, vcc
	;; [unrolled: 27-line block ×3, first 2 shown]
	global_store_dword v[4:5], v0, off
	v_or_b32_e32 v4, 0x3d00, v44
	v_mov_b32_e32 v5, v45
	v_lshlrev_b64 v[4:5], 2, v[4:5]
	v_mov_b32_e32 v0, s3
	v_add_co_u32_e32 v4, vcc, s2, v4
	v_addc_co_u32_e32 v5, vcc, v0, v5, vcc
	global_store_dword v[4:5], v1, off
	v_or_b32_e32 v0, 0x3e00, v44
	v_mov_b32_e32 v1, v45
	v_lshlrev_b64 v[0:1], 2, v[0:1]
	v_mov_b32_e32 v4, s3
	v_add_co_u32_e32 v0, vcc, s2, v0
	v_addc_co_u32_e32 v1, vcc, v4, v1, vcc
	v_or_b32_e32 v44, 0x3f00, v44
	global_store_dword v[0:1], v2, off
	v_lshlrev_b64 v[0:1], 2, v[44:45]
	v_mov_b32_e32 v2, s3
	v_add_co_u32_e32 v0, vcc, s2, v0
	v_addc_co_u32_e32 v1, vcc, v2, v1, vcc
	global_store_dword v[0:1], v3, off
	s_endpgm
	.section	.rodata,"a",@progbits
	.p2align	6, 0x0
	.amdhsa_kernel _Z16warp_load_kernelILj256ELj64ELj64ELN6hipcub17WarpLoadAlgorithmE0EiEvPT3_S3_
		.amdhsa_group_segment_fixed_size 0
		.amdhsa_private_segment_fixed_size 0
		.amdhsa_kernarg_size 16
		.amdhsa_user_sgpr_count 6
		.amdhsa_user_sgpr_private_segment_buffer 1
		.amdhsa_user_sgpr_dispatch_ptr 0
		.amdhsa_user_sgpr_queue_ptr 0
		.amdhsa_user_sgpr_kernarg_segment_ptr 1
		.amdhsa_user_sgpr_dispatch_id 0
		.amdhsa_user_sgpr_flat_scratch_init 0
		.amdhsa_user_sgpr_kernarg_preload_length 0
		.amdhsa_user_sgpr_kernarg_preload_offset 0
		.amdhsa_user_sgpr_private_segment_size 0
		.amdhsa_uses_dynamic_stack 0
		.amdhsa_system_sgpr_private_segment_wavefront_offset 0
		.amdhsa_system_sgpr_workgroup_id_x 1
		.amdhsa_system_sgpr_workgroup_id_y 0
		.amdhsa_system_sgpr_workgroup_id_z 0
		.amdhsa_system_sgpr_workgroup_info 0
		.amdhsa_system_vgpr_workitem_id 0
		.amdhsa_next_free_vgpr 71
		.amdhsa_next_free_sgpr 7
		.amdhsa_accum_offset 72
		.amdhsa_reserve_vcc 1
		.amdhsa_reserve_flat_scratch 0
		.amdhsa_float_round_mode_32 0
		.amdhsa_float_round_mode_16_64 0
		.amdhsa_float_denorm_mode_32 3
		.amdhsa_float_denorm_mode_16_64 3
		.amdhsa_dx10_clamp 1
		.amdhsa_ieee_mode 1
		.amdhsa_fp16_overflow 0
		.amdhsa_tg_split 0
		.amdhsa_exception_fp_ieee_invalid_op 0
		.amdhsa_exception_fp_denorm_src 0
		.amdhsa_exception_fp_ieee_div_zero 0
		.amdhsa_exception_fp_ieee_overflow 0
		.amdhsa_exception_fp_ieee_underflow 0
		.amdhsa_exception_fp_ieee_inexact 0
		.amdhsa_exception_int_div_zero 0
	.end_amdhsa_kernel
	.section	.text._Z16warp_load_kernelILj256ELj64ELj64ELN6hipcub17WarpLoadAlgorithmE0EiEvPT3_S3_,"axG",@progbits,_Z16warp_load_kernelILj256ELj64ELj64ELN6hipcub17WarpLoadAlgorithmE0EiEvPT3_S3_,comdat
.Lfunc_end53:
	.size	_Z16warp_load_kernelILj256ELj64ELj64ELN6hipcub17WarpLoadAlgorithmE0EiEvPT3_S3_, .Lfunc_end53-_Z16warp_load_kernelILj256ELj64ELj64ELN6hipcub17WarpLoadAlgorithmE0EiEvPT3_S3_
                                        ; -- End function
	.section	.AMDGPU.csdata,"",@progbits
; Kernel info:
; codeLenInByte = 2652
; NumSgprs: 11
; NumVgprs: 71
; NumAgprs: 0
; TotalNumVgprs: 71
; ScratchSize: 0
; MemoryBound: 0
; FloatMode: 240
; IeeeMode: 1
; LDSByteSize: 0 bytes/workgroup (compile time only)
; SGPRBlocks: 1
; VGPRBlocks: 8
; NumSGPRsForWavesPerEU: 11
; NumVGPRsForWavesPerEU: 71
; AccumOffset: 72
; Occupancy: 7
; WaveLimiterHint : 1
; COMPUTE_PGM_RSRC2:SCRATCH_EN: 0
; COMPUTE_PGM_RSRC2:USER_SGPR: 6
; COMPUTE_PGM_RSRC2:TRAP_HANDLER: 0
; COMPUTE_PGM_RSRC2:TGID_X_EN: 1
; COMPUTE_PGM_RSRC2:TGID_Y_EN: 0
; COMPUTE_PGM_RSRC2:TGID_Z_EN: 0
; COMPUTE_PGM_RSRC2:TIDIG_COMP_CNT: 0
; COMPUTE_PGM_RSRC3_GFX90A:ACCUM_OFFSET: 17
; COMPUTE_PGM_RSRC3_GFX90A:TG_SPLIT: 0
	.section	.text._Z16warp_load_kernelILj256ELj64ELj64ELN6hipcub17WarpLoadAlgorithmE1EiEvPT3_S3_,"axG",@progbits,_Z16warp_load_kernelILj256ELj64ELj64ELN6hipcub17WarpLoadAlgorithmE1EiEvPT3_S3_,comdat
	.protected	_Z16warp_load_kernelILj256ELj64ELj64ELN6hipcub17WarpLoadAlgorithmE1EiEvPT3_S3_ ; -- Begin function _Z16warp_load_kernelILj256ELj64ELj64ELN6hipcub17WarpLoadAlgorithmE1EiEvPT3_S3_
	.globl	_Z16warp_load_kernelILj256ELj64ELj64ELN6hipcub17WarpLoadAlgorithmE1EiEvPT3_S3_
	.p2align	8
	.type	_Z16warp_load_kernelILj256ELj64ELj64ELN6hipcub17WarpLoadAlgorithmE1EiEvPT3_S3_,@function
_Z16warp_load_kernelILj256ELj64ELj64ELN6hipcub17WarpLoadAlgorithmE1EiEvPT3_S3_: ; @_Z16warp_load_kernelILj256ELj64ELj64ELN6hipcub17WarpLoadAlgorithmE1EiEvPT3_S3_
; %bb.0:
	s_load_dwordx4 s[0:3], s[4:5], 0x0
	v_lshlrev_b32_e32 v2, 6, v0
	s_lshl_b32 s4, s6, 14
	v_and_b32_e32 v2, 0x3000, v2
	v_or_b32_e32 v2, s4, v2
	v_mov_b32_e32 v3, 0
	v_mbcnt_lo_u32_b32 v1, -1, 0
	v_lshlrev_b64 v[4:5], 2, v[2:3]
	v_mbcnt_hi_u32_b32 v1, -1, v1
	s_waitcnt lgkmcnt(0)
	v_mov_b32_e32 v2, s1
	v_add_co_u32_e32 v4, vcc, s0, v4
	v_addc_co_u32_e32 v2, vcc, v2, v5, vcc
	v_lshlrev_b32_e32 v5, 2, v1
	v_add_co_u32_e32 v4, vcc, v4, v5
	v_lshlrev_b32_e32 v1, 8, v1
	v_addc_co_u32_e32 v2, vcc, 0, v2, vcc
	v_and_b32_e32 v1, 0x4000, v1
	v_add_co_u32_e32 v4, vcc, v4, v1
	v_addc_co_u32_e32 v5, vcc, 0, v2, vcc
	global_load_dword v26, v[4:5], off
	global_load_dword v27, v[4:5], off offset:256
	global_load_dword v28, v[4:5], off offset:512
	;; [unrolled: 1-line block ×15, first 2 shown]
	s_movk_i32 s0, 0x1000
	v_add_co_u32_e32 v6, vcc, s0, v4
	v_addc_co_u32_e32 v7, vcc, 0, v5, vcc
	s_movk_i32 s0, 0x2000
	v_add_co_u32_e32 v8, vcc, s0, v4
	v_addc_co_u32_e32 v9, vcc, 0, v5, vcc
	s_movk_i32 s5, 0x3000
	global_load_dword v42, v[8:9], off offset:-4096
	global_load_dword v43, v[6:7], off offset:256
	global_load_dword v44, v[6:7], off offset:512
	;; [unrolled: 1-line block ×8, first 2 shown]
	global_load_dword v51, v[8:9], off
	global_load_dword v52, v[8:9], off offset:256
	global_load_dword v53, v[8:9], off offset:512
	;; [unrolled: 1-line block ×15, first 2 shown]
	v_add_co_u32_e32 v22, vcc, s5, v4
	v_or_b32_e32 v2, s4, v0
	v_addc_co_u32_e32 v23, vcc, 0, v5, vcc
	v_lshlrev_b64 v[0:1], 2, v[2:3]
	v_mov_b32_e32 v4, s3
	v_add_co_u32_e32 v24, vcc, s2, v0
	v_addc_co_u32_e32 v25, vcc, v4, v1, vcc
	global_load_dword v63, v[6:7], off offset:2304
	global_load_dword v64, v[6:7], off offset:2560
	;; [unrolled: 1-line block ×7, first 2 shown]
	global_load_dword v21, v[22:23], off
	global_load_dword v19, v[22:23], off offset:256
	global_load_dword v17, v[22:23], off offset:512
	;; [unrolled: 1-line block ×7, first 2 shown]
                                        ; kill: killed $vgpr6 killed $vgpr7
	global_load_dword v9, v[22:23], off offset:2048
	global_load_dword v8, v[22:23], off offset:2304
	;; [unrolled: 1-line block ×8, first 2 shown]
	v_or_b32_e32 v22, 0x400, v2
	v_mov_b32_e32 v23, v3
	v_lshlrev_b64 v[22:23], 2, v[22:23]
	v_add_co_u32_e32 v22, vcc, s2, v22
	s_waitcnt vmcnt(62)
	global_store_dword v[24:25], v26, off
	global_store_dword v[24:25], v27, off offset:1024
	s_waitcnt vmcnt(62)
	global_store_dword v[24:25], v28, off offset:2048
	global_store_dword v[24:25], v29, off offset:3072
	v_mov_b32_e32 v24, s3
	v_addc_co_u32_e32 v23, vcc, v24, v23, vcc
	s_waitcnt vmcnt(62)
	global_store_dword v[22:23], v30, off
	v_or_b32_e32 v22, 0x500, v2
	v_mov_b32_e32 v23, v3
	v_lshlrev_b64 v[22:23], 2, v[22:23]
	v_add_co_u32_e32 v22, vcc, s2, v22
	v_addc_co_u32_e32 v23, vcc, v24, v23, vcc
	global_store_dword v[22:23], v31, off
	v_or_b32_e32 v22, 0x600, v2
	v_mov_b32_e32 v23, v3
	v_lshlrev_b64 v[22:23], 2, v[22:23]
	v_add_co_u32_e32 v22, vcc, s2, v22
	v_addc_co_u32_e32 v23, vcc, v24, v23, vcc
	s_waitcnt vmcnt(62)
	global_store_dword v[22:23], v32, off
	v_or_b32_e32 v22, 0x700, v2
	v_mov_b32_e32 v23, v3
	v_lshlrev_b64 v[22:23], 2, v[22:23]
	v_add_co_u32_e32 v22, vcc, s2, v22
	v_addc_co_u32_e32 v23, vcc, v24, v23, vcc
	global_store_dword v[22:23], v33, off
	v_or_b32_e32 v22, 0x800, v2
	v_mov_b32_e32 v23, v3
	v_lshlrev_b64 v[22:23], 2, v[22:23]
	v_add_co_u32_e32 v22, vcc, s2, v22
	;; [unrolled: 13-line block ×10, first 2 shown]
	v_addc_co_u32_e32 v23, vcc, v24, v23, vcc
	s_waitcnt vmcnt(62)
	global_store_dword v[22:23], v50, off
	v_or_b32_e32 v22, 0x1900, v2
	v_mov_b32_e32 v23, v3
	v_lshlrev_b64 v[22:23], 2, v[22:23]
	v_add_co_u32_e32 v22, vcc, s2, v22
	v_addc_co_u32_e32 v23, vcc, v24, v23, vcc
	s_waitcnt vmcnt(47)
	global_store_dword v[22:23], v63, off
	v_or_b32_e32 v22, 0x1a00, v2
	v_mov_b32_e32 v23, v3
	v_lshlrev_b64 v[22:23], 2, v[22:23]
	v_add_co_u32_e32 v22, vcc, s2, v22
	;; [unrolled: 7-line block ×8, first 2 shown]
	v_addc_co_u32_e32 v23, vcc, v24, v23, vcc
	global_store_dword v[22:23], v51, off
	v_or_b32_e32 v22, 0x2100, v2
	v_mov_b32_e32 v23, v3
	v_lshlrev_b64 v[22:23], 2, v[22:23]
	v_add_co_u32_e32 v22, vcc, s2, v22
	v_addc_co_u32_e32 v23, vcc, v24, v23, vcc
	global_store_dword v[22:23], v52, off
	v_or_b32_e32 v22, 0x2200, v2
	v_mov_b32_e32 v23, v3
	v_lshlrev_b64 v[22:23], 2, v[22:23]
	v_add_co_u32_e32 v22, vcc, s2, v22
	v_addc_co_u32_e32 v23, vcc, v24, v23, vcc
	global_store_dword v[22:23], v53, off
	v_or_b32_e32 v22, 0x2300, v2
	v_mov_b32_e32 v23, v3
	v_lshlrev_b64 v[22:23], 2, v[22:23]
	v_add_co_u32_e32 v22, vcc, s2, v22
	v_addc_co_u32_e32 v23, vcc, v24, v23, vcc
	global_store_dword v[22:23], v54, off
	v_or_b32_e32 v22, 0x2400, v2
	v_mov_b32_e32 v23, v3
	v_lshlrev_b64 v[22:23], 2, v[22:23]
	v_add_co_u32_e32 v22, vcc, s2, v22
	v_addc_co_u32_e32 v23, vcc, v24, v23, vcc
	global_store_dword v[22:23], v55, off
	v_or_b32_e32 v22, 0x2500, v2
	v_mov_b32_e32 v23, v3
	v_lshlrev_b64 v[22:23], 2, v[22:23]
	v_add_co_u32_e32 v22, vcc, s2, v22
	v_addc_co_u32_e32 v23, vcc, v24, v23, vcc
	global_store_dword v[22:23], v56, off
	v_or_b32_e32 v22, 0x2600, v2
	v_mov_b32_e32 v23, v3
	v_lshlrev_b64 v[22:23], 2, v[22:23]
	v_add_co_u32_e32 v22, vcc, s2, v22
	v_addc_co_u32_e32 v23, vcc, v24, v23, vcc
	global_store_dword v[22:23], v57, off
	v_or_b32_e32 v22, 0x2700, v2
	v_mov_b32_e32 v23, v3
	v_lshlrev_b64 v[22:23], 2, v[22:23]
	v_add_co_u32_e32 v22, vcc, s2, v22
	v_addc_co_u32_e32 v23, vcc, v24, v23, vcc
	global_store_dword v[22:23], v58, off
	v_or_b32_e32 v22, 0x2800, v2
	v_mov_b32_e32 v23, v3
	v_lshlrev_b64 v[22:23], 2, v[22:23]
	v_add_co_u32_e32 v22, vcc, s2, v22
	v_addc_co_u32_e32 v23, vcc, v24, v23, vcc
	global_store_dword v[22:23], v59, off
	v_or_b32_e32 v22, 0x2900, v2
	v_mov_b32_e32 v23, v3
	v_lshlrev_b64 v[22:23], 2, v[22:23]
	v_add_co_u32_e32 v22, vcc, s2, v22
	v_addc_co_u32_e32 v23, vcc, v24, v23, vcc
	global_store_dword v[22:23], v60, off
	v_or_b32_e32 v22, 0x2a00, v2
	v_mov_b32_e32 v23, v3
	v_lshlrev_b64 v[22:23], 2, v[22:23]
	v_add_co_u32_e32 v22, vcc, s2, v22
	v_addc_co_u32_e32 v23, vcc, v24, v23, vcc
	global_store_dword v[22:23], v61, off
	v_or_b32_e32 v22, 0x2b00, v2
	v_mov_b32_e32 v23, v3
	v_lshlrev_b64 v[22:23], 2, v[22:23]
	v_add_co_u32_e32 v22, vcc, s2, v22
	v_addc_co_u32_e32 v23, vcc, v24, v23, vcc
	global_store_dword v[22:23], v62, off
	v_or_b32_e32 v22, 0x2c00, v2
	v_mov_b32_e32 v23, v3
	v_lshlrev_b64 v[22:23], 2, v[22:23]
	v_add_co_u32_e32 v22, vcc, s2, v22
	v_addc_co_u32_e32 v23, vcc, v24, v23, vcc
	global_store_dword v[22:23], v20, off
	v_or_b32_e32 v22, 0x2d00, v2
	v_mov_b32_e32 v23, v3
	v_lshlrev_b64 v[22:23], 2, v[22:23]
	v_mov_b32_e32 v20, s3
	v_add_co_u32_e32 v22, vcc, s2, v22
	v_addc_co_u32_e32 v23, vcc, v20, v23, vcc
	global_store_dword v[22:23], v18, off
	v_or_b32_e32 v22, 0x2e00, v2
	v_mov_b32_e32 v23, v3
	v_lshlrev_b64 v[22:23], 2, v[22:23]
	v_mov_b32_e32 v18, s3
	v_add_co_u32_e32 v22, vcc, s2, v22
	;; [unrolled: 7-line block ×4, first 2 shown]
	v_addc_co_u32_e32 v23, vcc, v14, v23, vcc
	s_waitcnt vmcnt(62)
	global_store_dword v[22:23], v21, off
	v_or_b32_e32 v20, 0x3100, v2
	v_mov_b32_e32 v21, v3
	v_lshlrev_b64 v[20:21], 2, v[20:21]
	v_add_co_u32_e32 v20, vcc, s2, v20
	v_addc_co_u32_e32 v21, vcc, v14, v21, vcc
	global_store_dword v[20:21], v19, off
	v_or_b32_e32 v18, 0x3200, v2
	v_mov_b32_e32 v19, v3
	v_lshlrev_b64 v[18:19], 2, v[18:19]
	v_add_co_u32_e32 v18, vcc, s2, v18
	v_addc_co_u32_e32 v19, vcc, v14, v19, vcc
	s_waitcnt vmcnt(62)
	global_store_dword v[18:19], v17, off
	v_or_b32_e32 v16, 0x3300, v2
	v_mov_b32_e32 v17, v3
	v_lshlrev_b64 v[16:17], 2, v[16:17]
	v_add_co_u32_e32 v16, vcc, s2, v16
	v_addc_co_u32_e32 v17, vcc, v14, v17, vcc
	global_store_dword v[16:17], v15, off
	v_or_b32_e32 v14, 0x3400, v2
	v_mov_b32_e32 v15, v3
	v_lshlrev_b64 v[14:15], 2, v[14:15]
	v_mov_b32_e32 v16, s3
	v_add_co_u32_e32 v14, vcc, s2, v14
	v_addc_co_u32_e32 v15, vcc, v16, v15, vcc
	s_waitcnt vmcnt(62)
	global_store_dword v[14:15], v13, off
	v_or_b32_e32 v14, 0x3500, v2
	v_mov_b32_e32 v15, v3
	v_lshlrev_b64 v[14:15], 2, v[14:15]
	v_mov_b32_e32 v13, s3
	v_add_co_u32_e32 v14, vcc, s2, v14
	v_addc_co_u32_e32 v15, vcc, v13, v15, vcc
	global_store_dword v[14:15], v12, off
	v_or_b32_e32 v12, 0x3600, v2
	v_mov_b32_e32 v13, v3
	v_lshlrev_b64 v[12:13], 2, v[12:13]
	v_mov_b32_e32 v14, s3
	v_add_co_u32_e32 v12, vcc, s2, v12
	v_addc_co_u32_e32 v13, vcc, v14, v13, vcc
	s_waitcnt vmcnt(62)
	global_store_dword v[12:13], v11, off
	v_or_b32_e32 v12, 0x3700, v2
	v_mov_b32_e32 v13, v3
	v_lshlrev_b64 v[12:13], 2, v[12:13]
	v_mov_b32_e32 v11, s3
	;; [unrolled: 15-line block ×5, first 2 shown]
	v_add_co_u32_e32 v6, vcc, s2, v6
	v_addc_co_u32_e32 v7, vcc, v5, v7, vcc
	global_store_dword v[6:7], v4, off
	v_or_b32_e32 v4, 0x3e00, v2
	v_mov_b32_e32 v5, v3
	v_lshlrev_b64 v[4:5], 2, v[4:5]
	v_mov_b32_e32 v6, s3
	v_add_co_u32_e32 v4, vcc, s2, v4
	v_or_b32_e32 v2, 0x3f00, v2
	v_addc_co_u32_e32 v5, vcc, v6, v5, vcc
	v_lshlrev_b64 v[2:3], 2, v[2:3]
	s_waitcnt vmcnt(62)
	global_store_dword v[4:5], v1, off
	v_mov_b32_e32 v1, s3
	v_add_co_u32_e32 v2, vcc, s2, v2
	v_addc_co_u32_e32 v3, vcc, v1, v3, vcc
	global_store_dword v[2:3], v0, off
	s_endpgm
	.section	.rodata,"a",@progbits
	.p2align	6, 0x0
	.amdhsa_kernel _Z16warp_load_kernelILj256ELj64ELj64ELN6hipcub17WarpLoadAlgorithmE1EiEvPT3_S3_
		.amdhsa_group_segment_fixed_size 0
		.amdhsa_private_segment_fixed_size 0
		.amdhsa_kernarg_size 16
		.amdhsa_user_sgpr_count 6
		.amdhsa_user_sgpr_private_segment_buffer 1
		.amdhsa_user_sgpr_dispatch_ptr 0
		.amdhsa_user_sgpr_queue_ptr 0
		.amdhsa_user_sgpr_kernarg_segment_ptr 1
		.amdhsa_user_sgpr_dispatch_id 0
		.amdhsa_user_sgpr_flat_scratch_init 0
		.amdhsa_user_sgpr_kernarg_preload_length 0
		.amdhsa_user_sgpr_kernarg_preload_offset 0
		.amdhsa_user_sgpr_private_segment_size 0
		.amdhsa_uses_dynamic_stack 0
		.amdhsa_system_sgpr_private_segment_wavefront_offset 0
		.amdhsa_system_sgpr_workgroup_id_x 1
		.amdhsa_system_sgpr_workgroup_id_y 0
		.amdhsa_system_sgpr_workgroup_id_z 0
		.amdhsa_system_sgpr_workgroup_info 0
		.amdhsa_system_vgpr_workitem_id 0
		.amdhsa_next_free_vgpr 70
		.amdhsa_next_free_sgpr 7
		.amdhsa_accum_offset 72
		.amdhsa_reserve_vcc 1
		.amdhsa_reserve_flat_scratch 0
		.amdhsa_float_round_mode_32 0
		.amdhsa_float_round_mode_16_64 0
		.amdhsa_float_denorm_mode_32 3
		.amdhsa_float_denorm_mode_16_64 3
		.amdhsa_dx10_clamp 1
		.amdhsa_ieee_mode 1
		.amdhsa_fp16_overflow 0
		.amdhsa_tg_split 0
		.amdhsa_exception_fp_ieee_invalid_op 0
		.amdhsa_exception_fp_denorm_src 0
		.amdhsa_exception_fp_ieee_div_zero 0
		.amdhsa_exception_fp_ieee_overflow 0
		.amdhsa_exception_fp_ieee_underflow 0
		.amdhsa_exception_fp_ieee_inexact 0
		.amdhsa_exception_int_div_zero 0
	.end_amdhsa_kernel
	.section	.text._Z16warp_load_kernelILj256ELj64ELj64ELN6hipcub17WarpLoadAlgorithmE1EiEvPT3_S3_,"axG",@progbits,_Z16warp_load_kernelILj256ELj64ELj64ELN6hipcub17WarpLoadAlgorithmE1EiEvPT3_S3_,comdat
.Lfunc_end54:
	.size	_Z16warp_load_kernelILj256ELj64ELj64ELN6hipcub17WarpLoadAlgorithmE1EiEvPT3_S3_, .Lfunc_end54-_Z16warp_load_kernelILj256ELj64ELj64ELN6hipcub17WarpLoadAlgorithmE1EiEvPT3_S3_
                                        ; -- End function
	.section	.AMDGPU.csdata,"",@progbits
; Kernel info:
; codeLenInByte = 3048
; NumSgprs: 11
; NumVgprs: 70
; NumAgprs: 0
; TotalNumVgprs: 70
; ScratchSize: 0
; MemoryBound: 0
; FloatMode: 240
; IeeeMode: 1
; LDSByteSize: 0 bytes/workgroup (compile time only)
; SGPRBlocks: 1
; VGPRBlocks: 8
; NumSGPRsForWavesPerEU: 11
; NumVGPRsForWavesPerEU: 70
; AccumOffset: 72
; Occupancy: 7
; WaveLimiterHint : 1
; COMPUTE_PGM_RSRC2:SCRATCH_EN: 0
; COMPUTE_PGM_RSRC2:USER_SGPR: 6
; COMPUTE_PGM_RSRC2:TRAP_HANDLER: 0
; COMPUTE_PGM_RSRC2:TGID_X_EN: 1
; COMPUTE_PGM_RSRC2:TGID_Y_EN: 0
; COMPUTE_PGM_RSRC2:TGID_Z_EN: 0
; COMPUTE_PGM_RSRC2:TIDIG_COMP_CNT: 0
; COMPUTE_PGM_RSRC3_GFX90A:ACCUM_OFFSET: 17
; COMPUTE_PGM_RSRC3_GFX90A:TG_SPLIT: 0
	.section	.text._Z16warp_load_kernelILj256ELj64ELj64ELN6hipcub17WarpLoadAlgorithmE2EiEvPT3_S3_,"axG",@progbits,_Z16warp_load_kernelILj256ELj64ELj64ELN6hipcub17WarpLoadAlgorithmE2EiEvPT3_S3_,comdat
	.protected	_Z16warp_load_kernelILj256ELj64ELj64ELN6hipcub17WarpLoadAlgorithmE2EiEvPT3_S3_ ; -- Begin function _Z16warp_load_kernelILj256ELj64ELj64ELN6hipcub17WarpLoadAlgorithmE2EiEvPT3_S3_
	.globl	_Z16warp_load_kernelILj256ELj64ELj64ELN6hipcub17WarpLoadAlgorithmE2EiEvPT3_S3_
	.p2align	8
	.type	_Z16warp_load_kernelILj256ELj64ELj64ELN6hipcub17WarpLoadAlgorithmE2EiEvPT3_S3_,@function
_Z16warp_load_kernelILj256ELj64ELj64ELN6hipcub17WarpLoadAlgorithmE2EiEvPT3_S3_: ; @_Z16warp_load_kernelILj256ELj64ELj64ELN6hipcub17WarpLoadAlgorithmE2EiEvPT3_S3_
; %bb.0:
	s_load_dwordx4 s[0:3], s[4:5], 0x0
	v_lshlrev_b32_e32 v2, 6, v0
	s_lshl_b32 s4, s6, 14
	v_and_b32_e32 v2, 0x3000, v2
	v_or_b32_e32 v44, s4, v2
	v_mov_b32_e32 v45, 0
	v_mbcnt_lo_u32_b32 v1, -1, 0
	v_lshlrev_b64 v[2:3], 2, v[44:45]
	v_mbcnt_hi_u32_b32 v1, -1, v1
	s_waitcnt lgkmcnt(0)
	v_mov_b32_e32 v4, s1
	v_add_co_u32_e32 v2, vcc, s0, v2
	v_addc_co_u32_e32 v3, vcc, v4, v3, vcc
	v_lshlrev_b32_e32 v1, 8, v1
	v_add_co_u32_e32 v66, vcc, v2, v1
	v_addc_co_u32_e32 v67, vcc, 0, v3, vcc
	global_load_dwordx4 v[46:49], v[66:67], off
	global_load_dwordx4 v[50:53], v[66:67], off offset:16
	v_or_b32_e32 v44, s4, v0
	v_lshlrev_b64 v[0:1], 2, v[44:45]
	v_mov_b32_e32 v2, s3
	v_add_co_u32_e32 v68, vcc, s2, v0
	v_addc_co_u32_e32 v69, vcc, v2, v1, vcc
	global_load_dwordx4 v[54:57], v[66:67], off offset:48
	global_load_dwordx4 v[58:61], v[66:67], off offset:32
	;; [unrolled: 1-line block ×14, first 2 shown]
	v_mov_b32_e32 v66, s3
	v_mov_b32_e32 v67, v45
	;; [unrolled: 1-line block ×3, first 2 shown]
	s_waitcnt vmcnt(15)
	global_store_dword v[68:69], v46, off
	global_store_dword v[68:69], v47, off offset:1024
	global_store_dword v[68:69], v48, off offset:2048
	;; [unrolled: 1-line block ×3, first 2 shown]
	v_mov_b32_e32 v47, v45
	v_or_b32_e32 v46, 0x400, v44
	v_lshlrev_b64 v[46:47], 2, v[46:47]
	v_mov_b32_e32 v48, s3
	v_add_co_u32_e32 v46, vcc, s2, v46
	v_addc_co_u32_e32 v47, vcc, v48, v47, vcc
	v_mov_b32_e32 v49, v45
	v_or_b32_e32 v48, 0x500, v44
	v_lshlrev_b64 v[48:49], 2, v[48:49]
	v_add_co_u32_e32 v48, vcc, s2, v48
	v_addc_co_u32_e32 v49, vcc, v66, v49, vcc
	v_or_b32_e32 v66, 0x600, v44
	v_lshlrev_b64 v[66:67], 2, v[66:67]
	v_mov_b32_e32 v68, s3
	v_add_co_u32_e32 v66, vcc, s2, v66
	v_addc_co_u32_e32 v67, vcc, v68, v67, vcc
	v_mov_b32_e32 v69, v45
	v_or_b32_e32 v68, 0x700, v44
	v_lshlrev_b64 v[68:69], 2, v[68:69]
	v_add_co_u32_e32 v68, vcc, s2, v68
	s_waitcnt vmcnt(18)
	global_store_dword v[46:47], v50, off
	global_store_dword v[48:49], v51, off
	v_mov_b32_e32 v47, v45
	v_or_b32_e32 v46, 0x800, v44
	v_addc_co_u32_e32 v69, vcc, v70, v69, vcc
	v_lshlrev_b64 v[46:47], 2, v[46:47]
	v_mov_b32_e32 v48, s3
	v_add_co_u32_e32 v46, vcc, s2, v46
	v_addc_co_u32_e32 v47, vcc, v48, v47, vcc
	v_or_b32_e32 v48, 0x900, v44
	v_mov_b32_e32 v49, v45
	v_lshlrev_b64 v[48:49], 2, v[48:49]
	v_mov_b32_e32 v50, s3
	v_add_co_u32_e32 v48, vcc, s2, v48
	v_addc_co_u32_e32 v49, vcc, v50, v49, vcc
	v_or_b32_e32 v50, 0xa00, v44
	v_mov_b32_e32 v51, v45
	v_lshlrev_b64 v[50:51], 2, v[50:51]
	global_store_dword v[66:67], v52, off
	v_mov_b32_e32 v52, s3
	v_add_co_u32_e32 v50, vcc, s2, v50
	global_store_dword v[68:69], v53, off
	v_addc_co_u32_e32 v51, vcc, v52, v51, vcc
	v_or_b32_e32 v52, 0xb00, v44
	v_mov_b32_e32 v53, v45
	v_lshlrev_b64 v[52:53], 2, v[52:53]
	v_mov_b32_e32 v66, s3
	v_add_co_u32_e32 v52, vcc, s2, v52
	v_addc_co_u32_e32 v53, vcc, v66, v53, vcc
	s_waitcnt vmcnt(20)
	global_store_dword v[46:47], v58, off
	global_store_dword v[48:49], v59, off
	;; [unrolled: 1-line block ×4, first 2 shown]
	v_or_b32_e32 v46, 0xc00, v44
	v_mov_b32_e32 v47, v45
	v_lshlrev_b64 v[46:47], 2, v[46:47]
	v_mov_b32_e32 v48, s3
	v_add_co_u32_e32 v46, vcc, s2, v46
	v_addc_co_u32_e32 v47, vcc, v48, v47, vcc
	v_or_b32_e32 v48, 0xd00, v44
	v_mov_b32_e32 v49, v45
	v_lshlrev_b64 v[48:49], 2, v[48:49]
	v_mov_b32_e32 v50, s3
	v_add_co_u32_e32 v48, vcc, s2, v48
	v_addc_co_u32_e32 v49, vcc, v50, v49, vcc
	;; [unrolled: 6-line block ×4, first 2 shown]
	global_store_dword v[46:47], v54, off
	global_store_dword v[48:49], v55, off
	;; [unrolled: 1-line block ×4, first 2 shown]
	v_or_b32_e32 v46, 0x1000, v44
	v_mov_b32_e32 v47, v45
	v_lshlrev_b64 v[46:47], 2, v[46:47]
	v_mov_b32_e32 v48, s3
	v_add_co_u32_e32 v46, vcc, s2, v46
	v_addc_co_u32_e32 v47, vcc, v48, v47, vcc
	v_or_b32_e32 v48, 0x1100, v44
	v_mov_b32_e32 v49, v45
	v_lshlrev_b64 v[48:49], 2, v[48:49]
	v_mov_b32_e32 v50, s3
	v_add_co_u32_e32 v48, vcc, s2, v48
	v_addc_co_u32_e32 v49, vcc, v50, v49, vcc
	;; [unrolled: 6-line block ×4, first 2 shown]
	s_waitcnt vmcnt(24)
	global_store_dword v[46:47], v62, off
	global_store_dword v[48:49], v63, off
	;; [unrolled: 1-line block ×4, first 2 shown]
	v_or_b32_e32 v46, 0x1400, v44
	v_mov_b32_e32 v47, v45
	v_lshlrev_b64 v[46:47], 2, v[46:47]
	v_mov_b32_e32 v48, s3
	v_add_co_u32_e32 v46, vcc, s2, v46
	v_addc_co_u32_e32 v47, vcc, v48, v47, vcc
	global_store_dword v[46:47], v40, off
	v_or_b32_e32 v46, 0x1500, v44
	v_mov_b32_e32 v47, v45
	v_lshlrev_b64 v[46:47], 2, v[46:47]
	v_mov_b32_e32 v40, s3
	v_add_co_u32_e32 v46, vcc, s2, v46
	v_addc_co_u32_e32 v47, vcc, v40, v47, vcc
	global_store_dword v[46:47], v41, off
	;; [unrolled: 7-line block ×4, first 2 shown]
	v_or_b32_e32 v40, 0x1800, v44
	v_mov_b32_e32 v41, v45
	v_lshlrev_b64 v[40:41], 2, v[40:41]
	v_add_co_u32_e32 v40, vcc, s2, v40
	v_addc_co_u32_e32 v41, vcc, v42, v41, vcc
	global_store_dword v[40:41], v36, off
	v_or_b32_e32 v40, 0x1900, v44
	v_mov_b32_e32 v41, v45
	v_lshlrev_b64 v[40:41], 2, v[40:41]
	v_mov_b32_e32 v36, s3
	v_add_co_u32_e32 v40, vcc, s2, v40
	v_addc_co_u32_e32 v41, vcc, v36, v41, vcc
	global_store_dword v[40:41], v37, off
	v_or_b32_e32 v36, 0x1a00, v44
	v_mov_b32_e32 v37, v45
	v_lshlrev_b64 v[36:37], 2, v[36:37]
	v_mov_b32_e32 v40, s3
	;; [unrolled: 7-line block ×3, first 2 shown]
	v_add_co_u32_e32 v36, vcc, s2, v36
	v_addc_co_u32_e32 v37, vcc, v38, v37, vcc
	global_store_dword v[36:37], v39, off
	v_or_b32_e32 v36, 0x1c00, v44
	v_mov_b32_e32 v37, v45
	v_lshlrev_b64 v[36:37], 2, v[36:37]
	v_add_co_u32_e32 v36, vcc, s2, v36
	v_addc_co_u32_e32 v37, vcc, v38, v37, vcc
	global_store_dword v[36:37], v32, off
	v_or_b32_e32 v36, 0x1d00, v44
	v_mov_b32_e32 v37, v45
	v_lshlrev_b64 v[36:37], 2, v[36:37]
	v_mov_b32_e32 v32, s3
	v_add_co_u32_e32 v36, vcc, s2, v36
	v_addc_co_u32_e32 v37, vcc, v32, v37, vcc
	global_store_dword v[36:37], v33, off
	v_or_b32_e32 v32, 0x1e00, v44
	v_mov_b32_e32 v33, v45
	v_lshlrev_b64 v[32:33], 2, v[32:33]
	v_mov_b32_e32 v36, s3
	;; [unrolled: 7-line block ×3, first 2 shown]
	v_add_co_u32_e32 v32, vcc, s2, v32
	v_addc_co_u32_e32 v33, vcc, v34, v33, vcc
	global_store_dword v[32:33], v35, off
	v_or_b32_e32 v32, 0x2000, v44
	v_mov_b32_e32 v33, v45
	v_lshlrev_b64 v[32:33], 2, v[32:33]
	v_add_co_u32_e32 v32, vcc, s2, v32
	v_addc_co_u32_e32 v33, vcc, v34, v33, vcc
	s_waitcnt vmcnt(36)
	global_store_dword v[32:33], v28, off
	v_or_b32_e32 v32, 0x2100, v44
	v_mov_b32_e32 v33, v45
	v_lshlrev_b64 v[32:33], 2, v[32:33]
	v_mov_b32_e32 v28, s3
	v_add_co_u32_e32 v32, vcc, s2, v32
	v_addc_co_u32_e32 v33, vcc, v28, v33, vcc
	global_store_dword v[32:33], v29, off
	v_or_b32_e32 v28, 0x2200, v44
	v_mov_b32_e32 v29, v45
	v_lshlrev_b64 v[28:29], 2, v[28:29]
	v_mov_b32_e32 v32, s3
	v_add_co_u32_e32 v28, vcc, s2, v28
	v_addc_co_u32_e32 v29, vcc, v32, v29, vcc
	global_store_dword v[28:29], v30, off
	v_or_b32_e32 v28, 0x2300, v44
	v_mov_b32_e32 v29, v45
	v_lshlrev_b64 v[28:29], 2, v[28:29]
	v_mov_b32_e32 v30, s3
	v_add_co_u32_e32 v28, vcc, s2, v28
	v_addc_co_u32_e32 v29, vcc, v30, v29, vcc
	global_store_dword v[28:29], v31, off
	v_or_b32_e32 v28, 0x2400, v44
	v_mov_b32_e32 v29, v45
	v_lshlrev_b64 v[28:29], 2, v[28:29]
	v_add_co_u32_e32 v28, vcc, s2, v28
	v_addc_co_u32_e32 v29, vcc, v30, v29, vcc
	global_store_dword v[28:29], v24, off
	v_or_b32_e32 v28, 0x2500, v44
	v_mov_b32_e32 v29, v45
	v_lshlrev_b64 v[28:29], 2, v[28:29]
	v_mov_b32_e32 v24, s3
	v_add_co_u32_e32 v28, vcc, s2, v28
	v_addc_co_u32_e32 v29, vcc, v24, v29, vcc
	global_store_dword v[28:29], v25, off
	v_or_b32_e32 v24, 0x2600, v44
	v_mov_b32_e32 v25, v45
	v_lshlrev_b64 v[24:25], 2, v[24:25]
	v_mov_b32_e32 v28, s3
	v_add_co_u32_e32 v24, vcc, s2, v24
	v_addc_co_u32_e32 v25, vcc, v28, v25, vcc
	global_store_dword v[24:25], v26, off
	v_or_b32_e32 v24, 0x2700, v44
	v_mov_b32_e32 v25, v45
	v_lshlrev_b64 v[24:25], 2, v[24:25]
	v_mov_b32_e32 v26, s3
	v_add_co_u32_e32 v24, vcc, s2, v24
	v_addc_co_u32_e32 v25, vcc, v26, v25, vcc
	global_store_dword v[24:25], v27, off
	v_or_b32_e32 v24, 0x2800, v44
	v_mov_b32_e32 v25, v45
	v_lshlrev_b64 v[24:25], 2, v[24:25]
	v_add_co_u32_e32 v24, vcc, s2, v24
	v_addc_co_u32_e32 v25, vcc, v26, v25, vcc
	;; [unrolled: 27-line block ×4, first 2 shown]
	s_waitcnt vmcnt(48)
	global_store_dword v[16:17], v12, off
	v_or_b32_e32 v16, 0x3100, v44
	v_mov_b32_e32 v17, v45
	v_lshlrev_b64 v[16:17], 2, v[16:17]
	v_mov_b32_e32 v12, s3
	v_add_co_u32_e32 v16, vcc, s2, v16
	v_addc_co_u32_e32 v17, vcc, v12, v17, vcc
	global_store_dword v[16:17], v13, off
	v_or_b32_e32 v12, 0x3200, v44
	v_mov_b32_e32 v13, v45
	v_lshlrev_b64 v[12:13], 2, v[12:13]
	v_mov_b32_e32 v16, s3
	v_add_co_u32_e32 v12, vcc, s2, v12
	v_addc_co_u32_e32 v13, vcc, v16, v13, vcc
	global_store_dword v[12:13], v14, off
	v_or_b32_e32 v12, 0x3300, v44
	v_mov_b32_e32 v13, v45
	v_lshlrev_b64 v[12:13], 2, v[12:13]
	v_mov_b32_e32 v14, s3
	v_add_co_u32_e32 v12, vcc, s2, v12
	v_addc_co_u32_e32 v13, vcc, v14, v13, vcc
	global_store_dword v[12:13], v15, off
	v_or_b32_e32 v12, 0x3400, v44
	v_mov_b32_e32 v13, v45
	v_lshlrev_b64 v[12:13], 2, v[12:13]
	v_add_co_u32_e32 v12, vcc, s2, v12
	v_addc_co_u32_e32 v13, vcc, v14, v13, vcc
	global_store_dword v[12:13], v8, off
	v_or_b32_e32 v12, 0x3500, v44
	v_mov_b32_e32 v13, v45
	v_lshlrev_b64 v[12:13], 2, v[12:13]
	v_mov_b32_e32 v8, s3
	v_add_co_u32_e32 v12, vcc, s2, v12
	v_addc_co_u32_e32 v13, vcc, v8, v13, vcc
	global_store_dword v[12:13], v9, off
	v_or_b32_e32 v8, 0x3600, v44
	v_mov_b32_e32 v9, v45
	v_lshlrev_b64 v[8:9], 2, v[8:9]
	v_mov_b32_e32 v12, s3
	v_add_co_u32_e32 v8, vcc, s2, v8
	v_addc_co_u32_e32 v9, vcc, v12, v9, vcc
	global_store_dword v[8:9], v10, off
	v_or_b32_e32 v8, 0x3700, v44
	v_mov_b32_e32 v9, v45
	v_lshlrev_b64 v[8:9], 2, v[8:9]
	v_mov_b32_e32 v10, s3
	v_add_co_u32_e32 v8, vcc, s2, v8
	v_addc_co_u32_e32 v9, vcc, v10, v9, vcc
	global_store_dword v[8:9], v11, off
	v_or_b32_e32 v8, 0x3800, v44
	v_mov_b32_e32 v9, v45
	v_lshlrev_b64 v[8:9], 2, v[8:9]
	v_add_co_u32_e32 v8, vcc, s2, v8
	v_addc_co_u32_e32 v9, vcc, v10, v9, vcc
	;; [unrolled: 27-line block ×3, first 2 shown]
	global_store_dword v[4:5], v0, off
	v_or_b32_e32 v4, 0x3d00, v44
	v_mov_b32_e32 v5, v45
	v_lshlrev_b64 v[4:5], 2, v[4:5]
	v_mov_b32_e32 v0, s3
	v_add_co_u32_e32 v4, vcc, s2, v4
	v_addc_co_u32_e32 v5, vcc, v0, v5, vcc
	global_store_dword v[4:5], v1, off
	v_or_b32_e32 v0, 0x3e00, v44
	v_mov_b32_e32 v1, v45
	v_lshlrev_b64 v[0:1], 2, v[0:1]
	v_mov_b32_e32 v4, s3
	v_add_co_u32_e32 v0, vcc, s2, v0
	v_addc_co_u32_e32 v1, vcc, v4, v1, vcc
	v_or_b32_e32 v44, 0x3f00, v44
	global_store_dword v[0:1], v2, off
	v_lshlrev_b64 v[0:1], 2, v[44:45]
	v_mov_b32_e32 v2, s3
	v_add_co_u32_e32 v0, vcc, s2, v0
	v_addc_co_u32_e32 v1, vcc, v2, v1, vcc
	global_store_dword v[0:1], v3, off
	s_endpgm
	.section	.rodata,"a",@progbits
	.p2align	6, 0x0
	.amdhsa_kernel _Z16warp_load_kernelILj256ELj64ELj64ELN6hipcub17WarpLoadAlgorithmE2EiEvPT3_S3_
		.amdhsa_group_segment_fixed_size 0
		.amdhsa_private_segment_fixed_size 0
		.amdhsa_kernarg_size 16
		.amdhsa_user_sgpr_count 6
		.amdhsa_user_sgpr_private_segment_buffer 1
		.amdhsa_user_sgpr_dispatch_ptr 0
		.amdhsa_user_sgpr_queue_ptr 0
		.amdhsa_user_sgpr_kernarg_segment_ptr 1
		.amdhsa_user_sgpr_dispatch_id 0
		.amdhsa_user_sgpr_flat_scratch_init 0
		.amdhsa_user_sgpr_kernarg_preload_length 0
		.amdhsa_user_sgpr_kernarg_preload_offset 0
		.amdhsa_user_sgpr_private_segment_size 0
		.amdhsa_uses_dynamic_stack 0
		.amdhsa_system_sgpr_private_segment_wavefront_offset 0
		.amdhsa_system_sgpr_workgroup_id_x 1
		.amdhsa_system_sgpr_workgroup_id_y 0
		.amdhsa_system_sgpr_workgroup_id_z 0
		.amdhsa_system_sgpr_workgroup_info 0
		.amdhsa_system_vgpr_workitem_id 0
		.amdhsa_next_free_vgpr 71
		.amdhsa_next_free_sgpr 7
		.amdhsa_accum_offset 72
		.amdhsa_reserve_vcc 1
		.amdhsa_reserve_flat_scratch 0
		.amdhsa_float_round_mode_32 0
		.amdhsa_float_round_mode_16_64 0
		.amdhsa_float_denorm_mode_32 3
		.amdhsa_float_denorm_mode_16_64 3
		.amdhsa_dx10_clamp 1
		.amdhsa_ieee_mode 1
		.amdhsa_fp16_overflow 0
		.amdhsa_tg_split 0
		.amdhsa_exception_fp_ieee_invalid_op 0
		.amdhsa_exception_fp_denorm_src 0
		.amdhsa_exception_fp_ieee_div_zero 0
		.amdhsa_exception_fp_ieee_overflow 0
		.amdhsa_exception_fp_ieee_underflow 0
		.amdhsa_exception_fp_ieee_inexact 0
		.amdhsa_exception_int_div_zero 0
	.end_amdhsa_kernel
	.section	.text._Z16warp_load_kernelILj256ELj64ELj64ELN6hipcub17WarpLoadAlgorithmE2EiEvPT3_S3_,"axG",@progbits,_Z16warp_load_kernelILj256ELj64ELj64ELN6hipcub17WarpLoadAlgorithmE2EiEvPT3_S3_,comdat
.Lfunc_end55:
	.size	_Z16warp_load_kernelILj256ELj64ELj64ELN6hipcub17WarpLoadAlgorithmE2EiEvPT3_S3_, .Lfunc_end55-_Z16warp_load_kernelILj256ELj64ELj64ELN6hipcub17WarpLoadAlgorithmE2EiEvPT3_S3_
                                        ; -- End function
	.section	.AMDGPU.csdata,"",@progbits
; Kernel info:
; codeLenInByte = 2652
; NumSgprs: 11
; NumVgprs: 71
; NumAgprs: 0
; TotalNumVgprs: 71
; ScratchSize: 0
; MemoryBound: 0
; FloatMode: 240
; IeeeMode: 1
; LDSByteSize: 0 bytes/workgroup (compile time only)
; SGPRBlocks: 1
; VGPRBlocks: 8
; NumSGPRsForWavesPerEU: 11
; NumVGPRsForWavesPerEU: 71
; AccumOffset: 72
; Occupancy: 7
; WaveLimiterHint : 1
; COMPUTE_PGM_RSRC2:SCRATCH_EN: 0
; COMPUTE_PGM_RSRC2:USER_SGPR: 6
; COMPUTE_PGM_RSRC2:TRAP_HANDLER: 0
; COMPUTE_PGM_RSRC2:TGID_X_EN: 1
; COMPUTE_PGM_RSRC2:TGID_Y_EN: 0
; COMPUTE_PGM_RSRC2:TGID_Z_EN: 0
; COMPUTE_PGM_RSRC2:TIDIG_COMP_CNT: 0
; COMPUTE_PGM_RSRC3_GFX90A:ACCUM_OFFSET: 17
; COMPUTE_PGM_RSRC3_GFX90A:TG_SPLIT: 0
	.section	.text._Z16warp_load_kernelILj256ELj4ELj64ELN6hipcub17WarpLoadAlgorithmE0EdEvPT3_S3_,"axG",@progbits,_Z16warp_load_kernelILj256ELj4ELj64ELN6hipcub17WarpLoadAlgorithmE0EdEvPT3_S3_,comdat
	.protected	_Z16warp_load_kernelILj256ELj4ELj64ELN6hipcub17WarpLoadAlgorithmE0EdEvPT3_S3_ ; -- Begin function _Z16warp_load_kernelILj256ELj4ELj64ELN6hipcub17WarpLoadAlgorithmE0EdEvPT3_S3_
	.globl	_Z16warp_load_kernelILj256ELj4ELj64ELN6hipcub17WarpLoadAlgorithmE0EdEvPT3_S3_
	.p2align	8
	.type	_Z16warp_load_kernelILj256ELj4ELj64ELN6hipcub17WarpLoadAlgorithmE0EdEvPT3_S3_,@function
_Z16warp_load_kernelILj256ELj4ELj64ELN6hipcub17WarpLoadAlgorithmE0EdEvPT3_S3_: ; @_Z16warp_load_kernelILj256ELj4ELj64ELN6hipcub17WarpLoadAlgorithmE0EdEvPT3_S3_
; %bb.0:
	s_load_dwordx4 s[0:3], s[4:5], 0x0
	v_lshlrev_b32_e32 v2, 2, v0
	s_lshl_b32 s4, s6, 10
	v_and_b32_e32 v2, 0x300, v2
	v_or_b32_e32 v10, s4, v2
	v_mov_b32_e32 v11, 0
	v_mbcnt_lo_u32_b32 v1, -1, 0
	v_lshlrev_b64 v[2:3], 3, v[10:11]
	v_mbcnt_hi_u32_b32 v1, -1, v1
	s_waitcnt lgkmcnt(0)
	v_mov_b32_e32 v4, s1
	v_add_co_u32_e32 v2, vcc, s0, v2
	v_addc_co_u32_e32 v3, vcc, v4, v3, vcc
	v_lshlrev_b32_e32 v1, 5, v1
	v_add_co_u32_e32 v12, vcc, v2, v1
	v_addc_co_u32_e32 v13, vcc, 0, v3, vcc
	global_load_dwordx4 v[2:5], v[12:13], off
	global_load_dwordx4 v[6:9], v[12:13], off offset:16
	v_or_b32_e32 v10, s4, v0
	v_lshlrev_b64 v[14:15], 3, v[10:11]
	v_mov_b32_e32 v1, v11
	v_or_b32_e32 v0, 0x100, v10
	v_mov_b32_e32 v16, s3
	v_add_co_u32_e32 v14, vcc, s2, v14
	v_lshlrev_b64 v[0:1], 3, v[0:1]
	v_addc_co_u32_e32 v15, vcc, v16, v15, vcc
	v_mov_b32_e32 v13, v11
	v_or_b32_e32 v12, 0x200, v10
	v_mov_b32_e32 v17, s3
	v_add_co_u32_e32 v0, vcc, s2, v0
	v_lshlrev_b64 v[12:13], 3, v[12:13]
	v_addc_co_u32_e32 v1, vcc, v17, v1, vcc
	v_or_b32_e32 v10, 0x300, v10
	v_mov_b32_e32 v18, s3
	v_add_co_u32_e32 v12, vcc, s2, v12
	v_lshlrev_b64 v[10:11], 3, v[10:11]
	v_addc_co_u32_e32 v13, vcc, v18, v13, vcc
	v_mov_b32_e32 v19, s3
	v_add_co_u32_e32 v10, vcc, s2, v10
	v_addc_co_u32_e32 v11, vcc, v19, v11, vcc
	s_waitcnt vmcnt(1)
	global_store_dwordx2 v[14:15], v[2:3], off
	global_store_dwordx2 v[0:1], v[4:5], off
	s_waitcnt vmcnt(2)
	global_store_dwordx2 v[12:13], v[6:7], off
	global_store_dwordx2 v[10:11], v[8:9], off
	s_endpgm
	.section	.rodata,"a",@progbits
	.p2align	6, 0x0
	.amdhsa_kernel _Z16warp_load_kernelILj256ELj4ELj64ELN6hipcub17WarpLoadAlgorithmE0EdEvPT3_S3_
		.amdhsa_group_segment_fixed_size 0
		.amdhsa_private_segment_fixed_size 0
		.amdhsa_kernarg_size 16
		.amdhsa_user_sgpr_count 6
		.amdhsa_user_sgpr_private_segment_buffer 1
		.amdhsa_user_sgpr_dispatch_ptr 0
		.amdhsa_user_sgpr_queue_ptr 0
		.amdhsa_user_sgpr_kernarg_segment_ptr 1
		.amdhsa_user_sgpr_dispatch_id 0
		.amdhsa_user_sgpr_flat_scratch_init 0
		.amdhsa_user_sgpr_kernarg_preload_length 0
		.amdhsa_user_sgpr_kernarg_preload_offset 0
		.amdhsa_user_sgpr_private_segment_size 0
		.amdhsa_uses_dynamic_stack 0
		.amdhsa_system_sgpr_private_segment_wavefront_offset 0
		.amdhsa_system_sgpr_workgroup_id_x 1
		.amdhsa_system_sgpr_workgroup_id_y 0
		.amdhsa_system_sgpr_workgroup_id_z 0
		.amdhsa_system_sgpr_workgroup_info 0
		.amdhsa_system_vgpr_workitem_id 0
		.amdhsa_next_free_vgpr 20
		.amdhsa_next_free_sgpr 7
		.amdhsa_accum_offset 20
		.amdhsa_reserve_vcc 1
		.amdhsa_reserve_flat_scratch 0
		.amdhsa_float_round_mode_32 0
		.amdhsa_float_round_mode_16_64 0
		.amdhsa_float_denorm_mode_32 3
		.amdhsa_float_denorm_mode_16_64 3
		.amdhsa_dx10_clamp 1
		.amdhsa_ieee_mode 1
		.amdhsa_fp16_overflow 0
		.amdhsa_tg_split 0
		.amdhsa_exception_fp_ieee_invalid_op 0
		.amdhsa_exception_fp_denorm_src 0
		.amdhsa_exception_fp_ieee_div_zero 0
		.amdhsa_exception_fp_ieee_overflow 0
		.amdhsa_exception_fp_ieee_underflow 0
		.amdhsa_exception_fp_ieee_inexact 0
		.amdhsa_exception_int_div_zero 0
	.end_amdhsa_kernel
	.section	.text._Z16warp_load_kernelILj256ELj4ELj64ELN6hipcub17WarpLoadAlgorithmE0EdEvPT3_S3_,"axG",@progbits,_Z16warp_load_kernelILj256ELj4ELj64ELN6hipcub17WarpLoadAlgorithmE0EdEvPT3_S3_,comdat
.Lfunc_end56:
	.size	_Z16warp_load_kernelILj256ELj4ELj64ELN6hipcub17WarpLoadAlgorithmE0EdEvPT3_S3_, .Lfunc_end56-_Z16warp_load_kernelILj256ELj4ELj64ELN6hipcub17WarpLoadAlgorithmE0EdEvPT3_S3_
                                        ; -- End function
	.section	.AMDGPU.csdata,"",@progbits
; Kernel info:
; codeLenInByte = 260
; NumSgprs: 11
; NumVgprs: 20
; NumAgprs: 0
; TotalNumVgprs: 20
; ScratchSize: 0
; MemoryBound: 0
; FloatMode: 240
; IeeeMode: 1
; LDSByteSize: 0 bytes/workgroup (compile time only)
; SGPRBlocks: 1
; VGPRBlocks: 2
; NumSGPRsForWavesPerEU: 11
; NumVGPRsForWavesPerEU: 20
; AccumOffset: 20
; Occupancy: 8
; WaveLimiterHint : 0
; COMPUTE_PGM_RSRC2:SCRATCH_EN: 0
; COMPUTE_PGM_RSRC2:USER_SGPR: 6
; COMPUTE_PGM_RSRC2:TRAP_HANDLER: 0
; COMPUTE_PGM_RSRC2:TGID_X_EN: 1
; COMPUTE_PGM_RSRC2:TGID_Y_EN: 0
; COMPUTE_PGM_RSRC2:TGID_Z_EN: 0
; COMPUTE_PGM_RSRC2:TIDIG_COMP_CNT: 0
; COMPUTE_PGM_RSRC3_GFX90A:ACCUM_OFFSET: 4
; COMPUTE_PGM_RSRC3_GFX90A:TG_SPLIT: 0
	.section	.text._Z16warp_load_kernelILj256ELj4ELj64ELN6hipcub17WarpLoadAlgorithmE1EdEvPT3_S3_,"axG",@progbits,_Z16warp_load_kernelILj256ELj4ELj64ELN6hipcub17WarpLoadAlgorithmE1EdEvPT3_S3_,comdat
	.protected	_Z16warp_load_kernelILj256ELj4ELj64ELN6hipcub17WarpLoadAlgorithmE1EdEvPT3_S3_ ; -- Begin function _Z16warp_load_kernelILj256ELj4ELj64ELN6hipcub17WarpLoadAlgorithmE1EdEvPT3_S3_
	.globl	_Z16warp_load_kernelILj256ELj4ELj64ELN6hipcub17WarpLoadAlgorithmE1EdEvPT3_S3_
	.p2align	8
	.type	_Z16warp_load_kernelILj256ELj4ELj64ELN6hipcub17WarpLoadAlgorithmE1EdEvPT3_S3_,@function
_Z16warp_load_kernelILj256ELj4ELj64ELN6hipcub17WarpLoadAlgorithmE1EdEvPT3_S3_: ; @_Z16warp_load_kernelILj256ELj4ELj64ELN6hipcub17WarpLoadAlgorithmE1EdEvPT3_S3_
; %bb.0:
	s_load_dwordx4 s[0:3], s[4:5], 0x0
	v_lshlrev_b32_e32 v2, 2, v0
	s_lshl_b32 s4, s6, 10
	v_and_b32_e32 v2, 0x300, v2
	v_or_b32_e32 v2, s4, v2
	v_mov_b32_e32 v3, 0
	v_mbcnt_lo_u32_b32 v1, -1, 0
	v_lshlrev_b64 v[4:5], 3, v[2:3]
	v_mbcnt_hi_u32_b32 v1, -1, v1
	s_waitcnt lgkmcnt(0)
	v_mov_b32_e32 v2, s1
	v_add_co_u32_e32 v4, vcc, s0, v4
	v_addc_co_u32_e32 v2, vcc, v2, v5, vcc
	v_lshlrev_b32_e32 v5, 3, v1
	v_add_co_u32_e32 v4, vcc, v4, v5
	v_lshlrev_b32_e32 v1, 5, v1
	v_addc_co_u32_e32 v2, vcc, 0, v2, vcc
	v_and_b32_e32 v1, 0x800, v1
	v_add_co_u32_e32 v4, vcc, v4, v1
	v_addc_co_u32_e32 v5, vcc, 0, v2, vcc
	global_load_dwordx2 v[6:7], v[4:5], off
	global_load_dwordx2 v[8:9], v[4:5], off offset:512
	global_load_dwordx2 v[10:11], v[4:5], off offset:1024
	;; [unrolled: 1-line block ×3, first 2 shown]
	v_or_b32_e32 v2, s4, v0
	v_lshlrev_b64 v[14:15], 3, v[2:3]
	v_mov_b32_e32 v1, v3
	v_or_b32_e32 v0, 0x100, v2
	v_mov_b32_e32 v16, s3
	v_add_co_u32_e32 v14, vcc, s2, v14
	v_lshlrev_b64 v[0:1], 3, v[0:1]
	v_addc_co_u32_e32 v15, vcc, v16, v15, vcc
	v_mov_b32_e32 v5, v3
	v_or_b32_e32 v4, 0x200, v2
	v_mov_b32_e32 v17, s3
	v_add_co_u32_e32 v0, vcc, s2, v0
	v_lshlrev_b64 v[4:5], 3, v[4:5]
	v_addc_co_u32_e32 v1, vcc, v17, v1, vcc
	v_or_b32_e32 v2, 0x300, v2
	v_mov_b32_e32 v18, s3
	v_add_co_u32_e32 v4, vcc, s2, v4
	v_lshlrev_b64 v[2:3], 3, v[2:3]
	v_addc_co_u32_e32 v5, vcc, v18, v5, vcc
	v_mov_b32_e32 v19, s3
	v_add_co_u32_e32 v2, vcc, s2, v2
	v_addc_co_u32_e32 v3, vcc, v19, v3, vcc
	s_waitcnt vmcnt(3)
	global_store_dwordx2 v[14:15], v[6:7], off
	s_waitcnt vmcnt(3)
	global_store_dwordx2 v[0:1], v[8:9], off
	;; [unrolled: 2-line block ×4, first 2 shown]
	s_endpgm
	.section	.rodata,"a",@progbits
	.p2align	6, 0x0
	.amdhsa_kernel _Z16warp_load_kernelILj256ELj4ELj64ELN6hipcub17WarpLoadAlgorithmE1EdEvPT3_S3_
		.amdhsa_group_segment_fixed_size 0
		.amdhsa_private_segment_fixed_size 0
		.amdhsa_kernarg_size 16
		.amdhsa_user_sgpr_count 6
		.amdhsa_user_sgpr_private_segment_buffer 1
		.amdhsa_user_sgpr_dispatch_ptr 0
		.amdhsa_user_sgpr_queue_ptr 0
		.amdhsa_user_sgpr_kernarg_segment_ptr 1
		.amdhsa_user_sgpr_dispatch_id 0
		.amdhsa_user_sgpr_flat_scratch_init 0
		.amdhsa_user_sgpr_kernarg_preload_length 0
		.amdhsa_user_sgpr_kernarg_preload_offset 0
		.amdhsa_user_sgpr_private_segment_size 0
		.amdhsa_uses_dynamic_stack 0
		.amdhsa_system_sgpr_private_segment_wavefront_offset 0
		.amdhsa_system_sgpr_workgroup_id_x 1
		.amdhsa_system_sgpr_workgroup_id_y 0
		.amdhsa_system_sgpr_workgroup_id_z 0
		.amdhsa_system_sgpr_workgroup_info 0
		.amdhsa_system_vgpr_workitem_id 0
		.amdhsa_next_free_vgpr 20
		.amdhsa_next_free_sgpr 7
		.amdhsa_accum_offset 20
		.amdhsa_reserve_vcc 1
		.amdhsa_reserve_flat_scratch 0
		.amdhsa_float_round_mode_32 0
		.amdhsa_float_round_mode_16_64 0
		.amdhsa_float_denorm_mode_32 3
		.amdhsa_float_denorm_mode_16_64 3
		.amdhsa_dx10_clamp 1
		.amdhsa_ieee_mode 1
		.amdhsa_fp16_overflow 0
		.amdhsa_tg_split 0
		.amdhsa_exception_fp_ieee_invalid_op 0
		.amdhsa_exception_fp_denorm_src 0
		.amdhsa_exception_fp_ieee_div_zero 0
		.amdhsa_exception_fp_ieee_overflow 0
		.amdhsa_exception_fp_ieee_underflow 0
		.amdhsa_exception_fp_ieee_inexact 0
		.amdhsa_exception_int_div_zero 0
	.end_amdhsa_kernel
	.section	.text._Z16warp_load_kernelILj256ELj4ELj64ELN6hipcub17WarpLoadAlgorithmE1EdEvPT3_S3_,"axG",@progbits,_Z16warp_load_kernelILj256ELj4ELj64ELN6hipcub17WarpLoadAlgorithmE1EdEvPT3_S3_,comdat
.Lfunc_end57:
	.size	_Z16warp_load_kernelILj256ELj4ELj64ELN6hipcub17WarpLoadAlgorithmE1EdEvPT3_S3_, .Lfunc_end57-_Z16warp_load_kernelILj256ELj4ELj64ELN6hipcub17WarpLoadAlgorithmE1EdEvPT3_S3_
                                        ; -- End function
	.section	.AMDGPU.csdata,"",@progbits
; Kernel info:
; codeLenInByte = 304
; NumSgprs: 11
; NumVgprs: 20
; NumAgprs: 0
; TotalNumVgprs: 20
; ScratchSize: 0
; MemoryBound: 0
; FloatMode: 240
; IeeeMode: 1
; LDSByteSize: 0 bytes/workgroup (compile time only)
; SGPRBlocks: 1
; VGPRBlocks: 2
; NumSGPRsForWavesPerEU: 11
; NumVGPRsForWavesPerEU: 20
; AccumOffset: 20
; Occupancy: 8
; WaveLimiterHint : 1
; COMPUTE_PGM_RSRC2:SCRATCH_EN: 0
; COMPUTE_PGM_RSRC2:USER_SGPR: 6
; COMPUTE_PGM_RSRC2:TRAP_HANDLER: 0
; COMPUTE_PGM_RSRC2:TGID_X_EN: 1
; COMPUTE_PGM_RSRC2:TGID_Y_EN: 0
; COMPUTE_PGM_RSRC2:TGID_Z_EN: 0
; COMPUTE_PGM_RSRC2:TIDIG_COMP_CNT: 0
; COMPUTE_PGM_RSRC3_GFX90A:ACCUM_OFFSET: 4
; COMPUTE_PGM_RSRC3_GFX90A:TG_SPLIT: 0
	.section	.text._Z16warp_load_kernelILj256ELj4ELj64ELN6hipcub17WarpLoadAlgorithmE2EdEvPT3_S3_,"axG",@progbits,_Z16warp_load_kernelILj256ELj4ELj64ELN6hipcub17WarpLoadAlgorithmE2EdEvPT3_S3_,comdat
	.protected	_Z16warp_load_kernelILj256ELj4ELj64ELN6hipcub17WarpLoadAlgorithmE2EdEvPT3_S3_ ; -- Begin function _Z16warp_load_kernelILj256ELj4ELj64ELN6hipcub17WarpLoadAlgorithmE2EdEvPT3_S3_
	.globl	_Z16warp_load_kernelILj256ELj4ELj64ELN6hipcub17WarpLoadAlgorithmE2EdEvPT3_S3_
	.p2align	8
	.type	_Z16warp_load_kernelILj256ELj4ELj64ELN6hipcub17WarpLoadAlgorithmE2EdEvPT3_S3_,@function
_Z16warp_load_kernelILj256ELj4ELj64ELN6hipcub17WarpLoadAlgorithmE2EdEvPT3_S3_: ; @_Z16warp_load_kernelILj256ELj4ELj64ELN6hipcub17WarpLoadAlgorithmE2EdEvPT3_S3_
; %bb.0:
	s_load_dwordx4 s[0:3], s[4:5], 0x0
	v_lshlrev_b32_e32 v2, 2, v0
	s_lshl_b32 s4, s6, 10
	v_and_b32_e32 v2, 0x300, v2
	v_or_b32_e32 v10, s4, v2
	v_mov_b32_e32 v11, 0
	v_mbcnt_lo_u32_b32 v1, -1, 0
	v_lshlrev_b64 v[2:3], 3, v[10:11]
	v_mbcnt_hi_u32_b32 v1, -1, v1
	s_waitcnt lgkmcnt(0)
	v_mov_b32_e32 v4, s1
	v_add_co_u32_e32 v2, vcc, s0, v2
	v_addc_co_u32_e32 v3, vcc, v4, v3, vcc
	v_lshlrev_b32_e32 v1, 5, v1
	v_add_co_u32_e32 v12, vcc, v2, v1
	v_addc_co_u32_e32 v13, vcc, 0, v3, vcc
	global_load_dwordx4 v[2:5], v[12:13], off
	global_load_dwordx4 v[6:9], v[12:13], off offset:16
	v_or_b32_e32 v10, s4, v0
	v_lshlrev_b64 v[14:15], 3, v[10:11]
	v_mov_b32_e32 v1, v11
	v_or_b32_e32 v0, 0x100, v10
	v_mov_b32_e32 v16, s3
	v_add_co_u32_e32 v14, vcc, s2, v14
	v_lshlrev_b64 v[0:1], 3, v[0:1]
	v_addc_co_u32_e32 v15, vcc, v16, v15, vcc
	v_mov_b32_e32 v13, v11
	v_or_b32_e32 v12, 0x200, v10
	v_mov_b32_e32 v17, s3
	v_add_co_u32_e32 v0, vcc, s2, v0
	v_lshlrev_b64 v[12:13], 3, v[12:13]
	v_addc_co_u32_e32 v1, vcc, v17, v1, vcc
	v_or_b32_e32 v10, 0x300, v10
	v_mov_b32_e32 v18, s3
	v_add_co_u32_e32 v12, vcc, s2, v12
	v_lshlrev_b64 v[10:11], 3, v[10:11]
	v_addc_co_u32_e32 v13, vcc, v18, v13, vcc
	v_mov_b32_e32 v19, s3
	v_add_co_u32_e32 v10, vcc, s2, v10
	v_addc_co_u32_e32 v11, vcc, v19, v11, vcc
	s_waitcnt vmcnt(1)
	global_store_dwordx2 v[14:15], v[2:3], off
	global_store_dwordx2 v[0:1], v[4:5], off
	s_waitcnt vmcnt(2)
	global_store_dwordx2 v[12:13], v[6:7], off
	global_store_dwordx2 v[10:11], v[8:9], off
	s_endpgm
	.section	.rodata,"a",@progbits
	.p2align	6, 0x0
	.amdhsa_kernel _Z16warp_load_kernelILj256ELj4ELj64ELN6hipcub17WarpLoadAlgorithmE2EdEvPT3_S3_
		.amdhsa_group_segment_fixed_size 0
		.amdhsa_private_segment_fixed_size 0
		.amdhsa_kernarg_size 16
		.amdhsa_user_sgpr_count 6
		.amdhsa_user_sgpr_private_segment_buffer 1
		.amdhsa_user_sgpr_dispatch_ptr 0
		.amdhsa_user_sgpr_queue_ptr 0
		.amdhsa_user_sgpr_kernarg_segment_ptr 1
		.amdhsa_user_sgpr_dispatch_id 0
		.amdhsa_user_sgpr_flat_scratch_init 0
		.amdhsa_user_sgpr_kernarg_preload_length 0
		.amdhsa_user_sgpr_kernarg_preload_offset 0
		.amdhsa_user_sgpr_private_segment_size 0
		.amdhsa_uses_dynamic_stack 0
		.amdhsa_system_sgpr_private_segment_wavefront_offset 0
		.amdhsa_system_sgpr_workgroup_id_x 1
		.amdhsa_system_sgpr_workgroup_id_y 0
		.amdhsa_system_sgpr_workgroup_id_z 0
		.amdhsa_system_sgpr_workgroup_info 0
		.amdhsa_system_vgpr_workitem_id 0
		.amdhsa_next_free_vgpr 20
		.amdhsa_next_free_sgpr 7
		.amdhsa_accum_offset 20
		.amdhsa_reserve_vcc 1
		.amdhsa_reserve_flat_scratch 0
		.amdhsa_float_round_mode_32 0
		.amdhsa_float_round_mode_16_64 0
		.amdhsa_float_denorm_mode_32 3
		.amdhsa_float_denorm_mode_16_64 3
		.amdhsa_dx10_clamp 1
		.amdhsa_ieee_mode 1
		.amdhsa_fp16_overflow 0
		.amdhsa_tg_split 0
		.amdhsa_exception_fp_ieee_invalid_op 0
		.amdhsa_exception_fp_denorm_src 0
		.amdhsa_exception_fp_ieee_div_zero 0
		.amdhsa_exception_fp_ieee_overflow 0
		.amdhsa_exception_fp_ieee_underflow 0
		.amdhsa_exception_fp_ieee_inexact 0
		.amdhsa_exception_int_div_zero 0
	.end_amdhsa_kernel
	.section	.text._Z16warp_load_kernelILj256ELj4ELj64ELN6hipcub17WarpLoadAlgorithmE2EdEvPT3_S3_,"axG",@progbits,_Z16warp_load_kernelILj256ELj4ELj64ELN6hipcub17WarpLoadAlgorithmE2EdEvPT3_S3_,comdat
.Lfunc_end58:
	.size	_Z16warp_load_kernelILj256ELj4ELj64ELN6hipcub17WarpLoadAlgorithmE2EdEvPT3_S3_, .Lfunc_end58-_Z16warp_load_kernelILj256ELj4ELj64ELN6hipcub17WarpLoadAlgorithmE2EdEvPT3_S3_
                                        ; -- End function
	.section	.AMDGPU.csdata,"",@progbits
; Kernel info:
; codeLenInByte = 260
; NumSgprs: 11
; NumVgprs: 20
; NumAgprs: 0
; TotalNumVgprs: 20
; ScratchSize: 0
; MemoryBound: 0
; FloatMode: 240
; IeeeMode: 1
; LDSByteSize: 0 bytes/workgroup (compile time only)
; SGPRBlocks: 1
; VGPRBlocks: 2
; NumSGPRsForWavesPerEU: 11
; NumVGPRsForWavesPerEU: 20
; AccumOffset: 20
; Occupancy: 8
; WaveLimiterHint : 0
; COMPUTE_PGM_RSRC2:SCRATCH_EN: 0
; COMPUTE_PGM_RSRC2:USER_SGPR: 6
; COMPUTE_PGM_RSRC2:TRAP_HANDLER: 0
; COMPUTE_PGM_RSRC2:TGID_X_EN: 1
; COMPUTE_PGM_RSRC2:TGID_Y_EN: 0
; COMPUTE_PGM_RSRC2:TGID_Z_EN: 0
; COMPUTE_PGM_RSRC2:TIDIG_COMP_CNT: 0
; COMPUTE_PGM_RSRC3_GFX90A:ACCUM_OFFSET: 4
; COMPUTE_PGM_RSRC3_GFX90A:TG_SPLIT: 0
	.section	.text._Z16warp_load_kernelILj256ELj4ELj64ELN6hipcub17WarpLoadAlgorithmE3EdEvPT3_S3_,"axG",@progbits,_Z16warp_load_kernelILj256ELj4ELj64ELN6hipcub17WarpLoadAlgorithmE3EdEvPT3_S3_,comdat
	.protected	_Z16warp_load_kernelILj256ELj4ELj64ELN6hipcub17WarpLoadAlgorithmE3EdEvPT3_S3_ ; -- Begin function _Z16warp_load_kernelILj256ELj4ELj64ELN6hipcub17WarpLoadAlgorithmE3EdEvPT3_S3_
	.globl	_Z16warp_load_kernelILj256ELj4ELj64ELN6hipcub17WarpLoadAlgorithmE3EdEvPT3_S3_
	.p2align	8
	.type	_Z16warp_load_kernelILj256ELj4ELj64ELN6hipcub17WarpLoadAlgorithmE3EdEvPT3_S3_,@function
_Z16warp_load_kernelILj256ELj4ELj64ELN6hipcub17WarpLoadAlgorithmE3EdEvPT3_S3_: ; @_Z16warp_load_kernelILj256ELj4ELj64ELN6hipcub17WarpLoadAlgorithmE3EdEvPT3_S3_
; %bb.0:
	s_load_dwordx4 s[0:3], s[4:5], 0x0
	v_lshrrev_b32_e32 v14, 6, v0
	s_lshl_b32 s4, s6, 10
	v_lshl_or_b32 v2, v14, 8, s4
	v_mov_b32_e32 v3, 0
	v_mbcnt_lo_u32_b32 v1, -1, 0
	v_lshlrev_b64 v[4:5], 3, v[2:3]
	v_mbcnt_hi_u32_b32 v1, -1, v1
	s_waitcnt lgkmcnt(0)
	v_mov_b32_e32 v2, s1
	v_add_co_u32_e32 v4, vcc, s0, v4
	v_addc_co_u32_e32 v2, vcc, v2, v5, vcc
	v_lshlrev_b32_e32 v15, 3, v1
	v_add_co_u32_e32 v4, vcc, v4, v15
	v_lshlrev_b32_e32 v16, 5, v1
	v_addc_co_u32_e32 v2, vcc, 0, v2, vcc
	v_and_b32_e32 v1, 0x800, v16
	v_add_co_u32_e32 v4, vcc, v4, v1
	v_addc_co_u32_e32 v5, vcc, 0, v2, vcc
	global_load_dwordx2 v[6:7], v[4:5], off
	global_load_dwordx2 v[8:9], v[4:5], off offset:512
	global_load_dwordx2 v[10:11], v[4:5], off offset:1024
	;; [unrolled: 1-line block ×3, first 2 shown]
	v_lshlrev_b32_e32 v2, 11, v14
	v_or_b32_e32 v22, v2, v15
	v_add_u32_e32 v23, v2, v16
	v_or_b32_e32 v2, s4, v0
	v_lshlrev_b64 v[14:15], 3, v[2:3]
	v_or_b32_e32 v0, 0x100, v2
	v_or_b32_e32 v4, 0x200, v2
	;; [unrolled: 1-line block ×3, first 2 shown]
	v_mov_b32_e32 v1, v3
	v_lshlrev_b64 v[16:17], 3, v[2:3]
	v_mov_b32_e32 v2, s3
	v_add_co_u32_e32 v14, vcc, s2, v14
	v_lshlrev_b64 v[0:1], 3, v[0:1]
	v_addc_co_u32_e32 v15, vcc, v2, v15, vcc
	v_mov_b32_e32 v5, v3
	v_mov_b32_e32 v3, s3
	v_add_co_u32_e32 v18, vcc, s2, v0
	v_lshlrev_b64 v[4:5], 3, v[4:5]
	v_addc_co_u32_e32 v19, vcc, v3, v1, vcc
	v_mov_b32_e32 v21, s3
	v_add_co_u32_e32 v20, vcc, s2, v4
	v_addc_co_u32_e32 v21, vcc, v21, v5, vcc
	v_mov_b32_e32 v24, s3
	s_waitcnt vmcnt(2)
	ds_write2st64_b64 v22, v[6:7], v[8:9] offset1:1
	s_waitcnt vmcnt(0)
	ds_write2st64_b64 v22, v[10:11], v[12:13] offset0:2 offset1:3
	; wave barrier
	ds_read_b128 v[0:3], v23
	ds_read_b128 v[4:7], v23 offset:16
	v_add_co_u32_e32 v8, vcc, s2, v16
	v_addc_co_u32_e32 v9, vcc, v24, v17, vcc
	s_waitcnt lgkmcnt(1)
	global_store_dwordx2 v[14:15], v[0:1], off
	global_store_dwordx2 v[18:19], v[2:3], off
	s_waitcnt lgkmcnt(0)
	global_store_dwordx2 v[20:21], v[4:5], off
	global_store_dwordx2 v[8:9], v[6:7], off
	s_endpgm
	.section	.rodata,"a",@progbits
	.p2align	6, 0x0
	.amdhsa_kernel _Z16warp_load_kernelILj256ELj4ELj64ELN6hipcub17WarpLoadAlgorithmE3EdEvPT3_S3_
		.amdhsa_group_segment_fixed_size 8192
		.amdhsa_private_segment_fixed_size 0
		.amdhsa_kernarg_size 16
		.amdhsa_user_sgpr_count 6
		.amdhsa_user_sgpr_private_segment_buffer 1
		.amdhsa_user_sgpr_dispatch_ptr 0
		.amdhsa_user_sgpr_queue_ptr 0
		.amdhsa_user_sgpr_kernarg_segment_ptr 1
		.amdhsa_user_sgpr_dispatch_id 0
		.amdhsa_user_sgpr_flat_scratch_init 0
		.amdhsa_user_sgpr_kernarg_preload_length 0
		.amdhsa_user_sgpr_kernarg_preload_offset 0
		.amdhsa_user_sgpr_private_segment_size 0
		.amdhsa_uses_dynamic_stack 0
		.amdhsa_system_sgpr_private_segment_wavefront_offset 0
		.amdhsa_system_sgpr_workgroup_id_x 1
		.amdhsa_system_sgpr_workgroup_id_y 0
		.amdhsa_system_sgpr_workgroup_id_z 0
		.amdhsa_system_sgpr_workgroup_info 0
		.amdhsa_system_vgpr_workitem_id 0
		.amdhsa_next_free_vgpr 25
		.amdhsa_next_free_sgpr 7
		.amdhsa_accum_offset 28
		.amdhsa_reserve_vcc 1
		.amdhsa_reserve_flat_scratch 0
		.amdhsa_float_round_mode_32 0
		.amdhsa_float_round_mode_16_64 0
		.amdhsa_float_denorm_mode_32 3
		.amdhsa_float_denorm_mode_16_64 3
		.amdhsa_dx10_clamp 1
		.amdhsa_ieee_mode 1
		.amdhsa_fp16_overflow 0
		.amdhsa_tg_split 0
		.amdhsa_exception_fp_ieee_invalid_op 0
		.amdhsa_exception_fp_denorm_src 0
		.amdhsa_exception_fp_ieee_div_zero 0
		.amdhsa_exception_fp_ieee_overflow 0
		.amdhsa_exception_fp_ieee_underflow 0
		.amdhsa_exception_fp_ieee_inexact 0
		.amdhsa_exception_int_div_zero 0
	.end_amdhsa_kernel
	.section	.text._Z16warp_load_kernelILj256ELj4ELj64ELN6hipcub17WarpLoadAlgorithmE3EdEvPT3_S3_,"axG",@progbits,_Z16warp_load_kernelILj256ELj4ELj64ELN6hipcub17WarpLoadAlgorithmE3EdEvPT3_S3_,comdat
.Lfunc_end59:
	.size	_Z16warp_load_kernelILj256ELj4ELj64ELN6hipcub17WarpLoadAlgorithmE3EdEvPT3_S3_, .Lfunc_end59-_Z16warp_load_kernelILj256ELj4ELj64ELN6hipcub17WarpLoadAlgorithmE3EdEvPT3_S3_
                                        ; -- End function
	.section	.AMDGPU.csdata,"",@progbits
; Kernel info:
; codeLenInByte = 344
; NumSgprs: 11
; NumVgprs: 25
; NumAgprs: 0
; TotalNumVgprs: 25
; ScratchSize: 0
; MemoryBound: 0
; FloatMode: 240
; IeeeMode: 1
; LDSByteSize: 8192 bytes/workgroup (compile time only)
; SGPRBlocks: 1
; VGPRBlocks: 3
; NumSGPRsForWavesPerEU: 11
; NumVGPRsForWavesPerEU: 25
; AccumOffset: 28
; Occupancy: 8
; WaveLimiterHint : 1
; COMPUTE_PGM_RSRC2:SCRATCH_EN: 0
; COMPUTE_PGM_RSRC2:USER_SGPR: 6
; COMPUTE_PGM_RSRC2:TRAP_HANDLER: 0
; COMPUTE_PGM_RSRC2:TGID_X_EN: 1
; COMPUTE_PGM_RSRC2:TGID_Y_EN: 0
; COMPUTE_PGM_RSRC2:TGID_Z_EN: 0
; COMPUTE_PGM_RSRC2:TIDIG_COMP_CNT: 0
; COMPUTE_PGM_RSRC3_GFX90A:ACCUM_OFFSET: 6
; COMPUTE_PGM_RSRC3_GFX90A:TG_SPLIT: 0
	.section	.text._Z16warp_load_kernelILj256ELj8ELj64ELN6hipcub17WarpLoadAlgorithmE0EdEvPT3_S3_,"axG",@progbits,_Z16warp_load_kernelILj256ELj8ELj64ELN6hipcub17WarpLoadAlgorithmE0EdEvPT3_S3_,comdat
	.protected	_Z16warp_load_kernelILj256ELj8ELj64ELN6hipcub17WarpLoadAlgorithmE0EdEvPT3_S3_ ; -- Begin function _Z16warp_load_kernelILj256ELj8ELj64ELN6hipcub17WarpLoadAlgorithmE0EdEvPT3_S3_
	.globl	_Z16warp_load_kernelILj256ELj8ELj64ELN6hipcub17WarpLoadAlgorithmE0EdEvPT3_S3_
	.p2align	8
	.type	_Z16warp_load_kernelILj256ELj8ELj64ELN6hipcub17WarpLoadAlgorithmE0EdEvPT3_S3_,@function
_Z16warp_load_kernelILj256ELj8ELj64ELN6hipcub17WarpLoadAlgorithmE0EdEvPT3_S3_: ; @_Z16warp_load_kernelILj256ELj8ELj64ELN6hipcub17WarpLoadAlgorithmE0EdEvPT3_S3_
; %bb.0:
	s_load_dwordx4 s[0:3], s[4:5], 0x0
	v_lshlrev_b32_e32 v2, 3, v0
	s_lshl_b32 s4, s6, 11
	v_and_b32_e32 v2, 0x600, v2
	v_or_b32_e32 v18, s4, v2
	v_mov_b32_e32 v19, 0
	v_mbcnt_lo_u32_b32 v1, -1, 0
	v_lshlrev_b64 v[2:3], 3, v[18:19]
	v_mbcnt_hi_u32_b32 v1, -1, v1
	s_waitcnt lgkmcnt(0)
	v_mov_b32_e32 v4, s1
	v_add_co_u32_e32 v2, vcc, s0, v2
	v_addc_co_u32_e32 v3, vcc, v4, v3, vcc
	v_lshlrev_b32_e32 v1, 6, v1
	v_add_co_u32_e32 v20, vcc, v2, v1
	v_addc_co_u32_e32 v21, vcc, 0, v3, vcc
	global_load_dwordx4 v[2:5], v[20:21], off
	global_load_dwordx4 v[6:9], v[20:21], off offset:16
	global_load_dwordx4 v[10:13], v[20:21], off offset:32
	;; [unrolled: 1-line block ×3, first 2 shown]
	v_or_b32_e32 v18, s4, v0
	v_lshlrev_b64 v[28:29], 3, v[18:19]
	v_mov_b32_e32 v1, v19
	v_or_b32_e32 v0, 0x200, v18
	v_mov_b32_e32 v30, s3
	v_add_co_u32_e32 v28, vcc, s2, v28
	v_lshlrev_b64 v[0:1], 3, v[0:1]
	v_addc_co_u32_e32 v29, vcc, v30, v29, vcc
	v_mov_b32_e32 v21, v19
	v_or_b32_e32 v20, 0x300, v18
	v_mov_b32_e32 v31, s3
	v_add_co_u32_e32 v0, vcc, s2, v0
	v_lshlrev_b64 v[20:21], 3, v[20:21]
	v_addc_co_u32_e32 v1, vcc, v31, v1, vcc
	;; [unrolled: 6-line block ×5, first 2 shown]
	v_or_b32_e32 v18, 0x700, v18
	v_mov_b32_e32 v35, s3
	v_add_co_u32_e32 v26, vcc, s2, v26
	v_lshlrev_b64 v[18:19], 3, v[18:19]
	v_addc_co_u32_e32 v27, vcc, v35, v27, vcc
	v_mov_b32_e32 v36, s3
	v_add_co_u32_e32 v18, vcc, s2, v18
	v_addc_co_u32_e32 v19, vcc, v36, v19, vcc
	s_waitcnt vmcnt(3)
	global_store_dwordx2 v[28:29], v[2:3], off
	global_store_dwordx2 v[28:29], v[4:5], off offset:2048
	s_waitcnt vmcnt(4)
	global_store_dwordx2 v[0:1], v[6:7], off
	global_store_dwordx2 v[20:21], v[8:9], off
	s_waitcnt vmcnt(5)
	global_store_dwordx2 v[22:23], v[10:11], off
	global_store_dwordx2 v[24:25], v[12:13], off
	;; [unrolled: 3-line block ×3, first 2 shown]
	s_endpgm
	.section	.rodata,"a",@progbits
	.p2align	6, 0x0
	.amdhsa_kernel _Z16warp_load_kernelILj256ELj8ELj64ELN6hipcub17WarpLoadAlgorithmE0EdEvPT3_S3_
		.amdhsa_group_segment_fixed_size 0
		.amdhsa_private_segment_fixed_size 0
		.amdhsa_kernarg_size 16
		.amdhsa_user_sgpr_count 6
		.amdhsa_user_sgpr_private_segment_buffer 1
		.amdhsa_user_sgpr_dispatch_ptr 0
		.amdhsa_user_sgpr_queue_ptr 0
		.amdhsa_user_sgpr_kernarg_segment_ptr 1
		.amdhsa_user_sgpr_dispatch_id 0
		.amdhsa_user_sgpr_flat_scratch_init 0
		.amdhsa_user_sgpr_kernarg_preload_length 0
		.amdhsa_user_sgpr_kernarg_preload_offset 0
		.amdhsa_user_sgpr_private_segment_size 0
		.amdhsa_uses_dynamic_stack 0
		.amdhsa_system_sgpr_private_segment_wavefront_offset 0
		.amdhsa_system_sgpr_workgroup_id_x 1
		.amdhsa_system_sgpr_workgroup_id_y 0
		.amdhsa_system_sgpr_workgroup_id_z 0
		.amdhsa_system_sgpr_workgroup_info 0
		.amdhsa_system_vgpr_workitem_id 0
		.amdhsa_next_free_vgpr 37
		.amdhsa_next_free_sgpr 7
		.amdhsa_accum_offset 40
		.amdhsa_reserve_vcc 1
		.amdhsa_reserve_flat_scratch 0
		.amdhsa_float_round_mode_32 0
		.amdhsa_float_round_mode_16_64 0
		.amdhsa_float_denorm_mode_32 3
		.amdhsa_float_denorm_mode_16_64 3
		.amdhsa_dx10_clamp 1
		.amdhsa_ieee_mode 1
		.amdhsa_fp16_overflow 0
		.amdhsa_tg_split 0
		.amdhsa_exception_fp_ieee_invalid_op 0
		.amdhsa_exception_fp_denorm_src 0
		.amdhsa_exception_fp_ieee_div_zero 0
		.amdhsa_exception_fp_ieee_overflow 0
		.amdhsa_exception_fp_ieee_underflow 0
		.amdhsa_exception_fp_ieee_inexact 0
		.amdhsa_exception_int_div_zero 0
	.end_amdhsa_kernel
	.section	.text._Z16warp_load_kernelILj256ELj8ELj64ELN6hipcub17WarpLoadAlgorithmE0EdEvPT3_S3_,"axG",@progbits,_Z16warp_load_kernelILj256ELj8ELj64ELN6hipcub17WarpLoadAlgorithmE0EdEvPT3_S3_,comdat
.Lfunc_end60:
	.size	_Z16warp_load_kernelILj256ELj8ELj64ELN6hipcub17WarpLoadAlgorithmE0EdEvPT3_S3_, .Lfunc_end60-_Z16warp_load_kernelILj256ELj8ELj64ELN6hipcub17WarpLoadAlgorithmE0EdEvPT3_S3_
                                        ; -- End function
	.section	.AMDGPU.csdata,"",@progbits
; Kernel info:
; codeLenInByte = 412
; NumSgprs: 11
; NumVgprs: 37
; NumAgprs: 0
; TotalNumVgprs: 37
; ScratchSize: 0
; MemoryBound: 0
; FloatMode: 240
; IeeeMode: 1
; LDSByteSize: 0 bytes/workgroup (compile time only)
; SGPRBlocks: 1
; VGPRBlocks: 4
; NumSGPRsForWavesPerEU: 11
; NumVGPRsForWavesPerEU: 37
; AccumOffset: 40
; Occupancy: 8
; WaveLimiterHint : 1
; COMPUTE_PGM_RSRC2:SCRATCH_EN: 0
; COMPUTE_PGM_RSRC2:USER_SGPR: 6
; COMPUTE_PGM_RSRC2:TRAP_HANDLER: 0
; COMPUTE_PGM_RSRC2:TGID_X_EN: 1
; COMPUTE_PGM_RSRC2:TGID_Y_EN: 0
; COMPUTE_PGM_RSRC2:TGID_Z_EN: 0
; COMPUTE_PGM_RSRC2:TIDIG_COMP_CNT: 0
; COMPUTE_PGM_RSRC3_GFX90A:ACCUM_OFFSET: 9
; COMPUTE_PGM_RSRC3_GFX90A:TG_SPLIT: 0
	.section	.text._Z16warp_load_kernelILj256ELj8ELj64ELN6hipcub17WarpLoadAlgorithmE1EdEvPT3_S3_,"axG",@progbits,_Z16warp_load_kernelILj256ELj8ELj64ELN6hipcub17WarpLoadAlgorithmE1EdEvPT3_S3_,comdat
	.protected	_Z16warp_load_kernelILj256ELj8ELj64ELN6hipcub17WarpLoadAlgorithmE1EdEvPT3_S3_ ; -- Begin function _Z16warp_load_kernelILj256ELj8ELj64ELN6hipcub17WarpLoadAlgorithmE1EdEvPT3_S3_
	.globl	_Z16warp_load_kernelILj256ELj8ELj64ELN6hipcub17WarpLoadAlgorithmE1EdEvPT3_S3_
	.p2align	8
	.type	_Z16warp_load_kernelILj256ELj8ELj64ELN6hipcub17WarpLoadAlgorithmE1EdEvPT3_S3_,@function
_Z16warp_load_kernelILj256ELj8ELj64ELN6hipcub17WarpLoadAlgorithmE1EdEvPT3_S3_: ; @_Z16warp_load_kernelILj256ELj8ELj64ELN6hipcub17WarpLoadAlgorithmE1EdEvPT3_S3_
; %bb.0:
	s_load_dwordx4 s[0:3], s[4:5], 0x0
	v_lshlrev_b32_e32 v2, 3, v0
	s_lshl_b32 s4, s6, 11
	v_and_b32_e32 v2, 0x600, v2
	v_or_b32_e32 v2, s4, v2
	v_mov_b32_e32 v3, 0
	v_mbcnt_lo_u32_b32 v1, -1, 0
	v_lshlrev_b64 v[4:5], 3, v[2:3]
	v_mbcnt_hi_u32_b32 v1, -1, v1
	s_waitcnt lgkmcnt(0)
	v_mov_b32_e32 v2, s1
	v_add_co_u32_e32 v4, vcc, s0, v4
	v_addc_co_u32_e32 v2, vcc, v2, v5, vcc
	v_lshlrev_b32_e32 v5, 3, v1
	v_add_co_u32_e32 v4, vcc, v4, v5
	v_lshlrev_b32_e32 v1, 6, v1
	v_addc_co_u32_e32 v2, vcc, 0, v2, vcc
	v_and_b32_e32 v1, 0x1000, v1
	v_add_co_u32_e32 v4, vcc, v4, v1
	v_addc_co_u32_e32 v5, vcc, 0, v2, vcc
	global_load_dwordx2 v[6:7], v[4:5], off
	global_load_dwordx2 v[8:9], v[4:5], off offset:512
	global_load_dwordx2 v[10:11], v[4:5], off offset:1024
	;; [unrolled: 1-line block ×7, first 2 shown]
	v_or_b32_e32 v2, s4, v0
	v_lshlrev_b64 v[28:29], 3, v[2:3]
	v_mov_b32_e32 v1, v3
	v_or_b32_e32 v0, 0x200, v2
	v_mov_b32_e32 v30, s3
	v_add_co_u32_e32 v28, vcc, s2, v28
	v_lshlrev_b64 v[0:1], 3, v[0:1]
	v_addc_co_u32_e32 v29, vcc, v30, v29, vcc
	v_mov_b32_e32 v5, v3
	v_or_b32_e32 v4, 0x300, v2
	v_mov_b32_e32 v31, s3
	v_add_co_u32_e32 v0, vcc, s2, v0
	v_lshlrev_b64 v[4:5], 3, v[4:5]
	v_addc_co_u32_e32 v1, vcc, v31, v1, vcc
	;; [unrolled: 6-line block ×5, first 2 shown]
	v_or_b32_e32 v2, 0x700, v2
	v_mov_b32_e32 v35, s3
	v_add_co_u32_e32 v26, vcc, s2, v26
	v_addc_co_u32_e32 v27, vcc, v35, v27, vcc
	s_waitcnt vmcnt(7)
	global_store_dwordx2 v[28:29], v[6:7], off
	s_waitcnt vmcnt(7)
	global_store_dwordx2 v[28:29], v[8:9], off offset:2048
	s_waitcnt vmcnt(7)
	global_store_dwordx2 v[0:1], v[10:11], off
	s_waitcnt vmcnt(7)
	global_store_dwordx2 v[4:5], v[12:13], off
	;; [unrolled: 2-line block ×5, first 2 shown]
	v_lshlrev_b64 v[0:1], 3, v[2:3]
	v_mov_b32_e32 v2, s3
	v_add_co_u32_e32 v0, vcc, s2, v0
	v_addc_co_u32_e32 v1, vcc, v2, v1, vcc
	s_waitcnt vmcnt(7)
	global_store_dwordx2 v[0:1], v[20:21], off
	s_endpgm
	.section	.rodata,"a",@progbits
	.p2align	6, 0x0
	.amdhsa_kernel _Z16warp_load_kernelILj256ELj8ELj64ELN6hipcub17WarpLoadAlgorithmE1EdEvPT3_S3_
		.amdhsa_group_segment_fixed_size 0
		.amdhsa_private_segment_fixed_size 0
		.amdhsa_kernarg_size 16
		.amdhsa_user_sgpr_count 6
		.amdhsa_user_sgpr_private_segment_buffer 1
		.amdhsa_user_sgpr_dispatch_ptr 0
		.amdhsa_user_sgpr_queue_ptr 0
		.amdhsa_user_sgpr_kernarg_segment_ptr 1
		.amdhsa_user_sgpr_dispatch_id 0
		.amdhsa_user_sgpr_flat_scratch_init 0
		.amdhsa_user_sgpr_kernarg_preload_length 0
		.amdhsa_user_sgpr_kernarg_preload_offset 0
		.amdhsa_user_sgpr_private_segment_size 0
		.amdhsa_uses_dynamic_stack 0
		.amdhsa_system_sgpr_private_segment_wavefront_offset 0
		.amdhsa_system_sgpr_workgroup_id_x 1
		.amdhsa_system_sgpr_workgroup_id_y 0
		.amdhsa_system_sgpr_workgroup_id_z 0
		.amdhsa_system_sgpr_workgroup_info 0
		.amdhsa_system_vgpr_workitem_id 0
		.amdhsa_next_free_vgpr 36
		.amdhsa_next_free_sgpr 7
		.amdhsa_accum_offset 36
		.amdhsa_reserve_vcc 1
		.amdhsa_reserve_flat_scratch 0
		.amdhsa_float_round_mode_32 0
		.amdhsa_float_round_mode_16_64 0
		.amdhsa_float_denorm_mode_32 3
		.amdhsa_float_denorm_mode_16_64 3
		.amdhsa_dx10_clamp 1
		.amdhsa_ieee_mode 1
		.amdhsa_fp16_overflow 0
		.amdhsa_tg_split 0
		.amdhsa_exception_fp_ieee_invalid_op 0
		.amdhsa_exception_fp_denorm_src 0
		.amdhsa_exception_fp_ieee_div_zero 0
		.amdhsa_exception_fp_ieee_overflow 0
		.amdhsa_exception_fp_ieee_underflow 0
		.amdhsa_exception_fp_ieee_inexact 0
		.amdhsa_exception_int_div_zero 0
	.end_amdhsa_kernel
	.section	.text._Z16warp_load_kernelILj256ELj8ELj64ELN6hipcub17WarpLoadAlgorithmE1EdEvPT3_S3_,"axG",@progbits,_Z16warp_load_kernelILj256ELj8ELj64ELN6hipcub17WarpLoadAlgorithmE1EdEvPT3_S3_,comdat
.Lfunc_end61:
	.size	_Z16warp_load_kernelILj256ELj8ELj64ELN6hipcub17WarpLoadAlgorithmE1EdEvPT3_S3_, .Lfunc_end61-_Z16warp_load_kernelILj256ELj8ELj64ELN6hipcub17WarpLoadAlgorithmE1EdEvPT3_S3_
                                        ; -- End function
	.section	.AMDGPU.csdata,"",@progbits
; Kernel info:
; codeLenInByte = 480
; NumSgprs: 11
; NumVgprs: 36
; NumAgprs: 0
; TotalNumVgprs: 36
; ScratchSize: 0
; MemoryBound: 1
; FloatMode: 240
; IeeeMode: 1
; LDSByteSize: 0 bytes/workgroup (compile time only)
; SGPRBlocks: 1
; VGPRBlocks: 4
; NumSGPRsForWavesPerEU: 11
; NumVGPRsForWavesPerEU: 36
; AccumOffset: 36
; Occupancy: 8
; WaveLimiterHint : 1
; COMPUTE_PGM_RSRC2:SCRATCH_EN: 0
; COMPUTE_PGM_RSRC2:USER_SGPR: 6
; COMPUTE_PGM_RSRC2:TRAP_HANDLER: 0
; COMPUTE_PGM_RSRC2:TGID_X_EN: 1
; COMPUTE_PGM_RSRC2:TGID_Y_EN: 0
; COMPUTE_PGM_RSRC2:TGID_Z_EN: 0
; COMPUTE_PGM_RSRC2:TIDIG_COMP_CNT: 0
; COMPUTE_PGM_RSRC3_GFX90A:ACCUM_OFFSET: 8
; COMPUTE_PGM_RSRC3_GFX90A:TG_SPLIT: 0
	.section	.text._Z16warp_load_kernelILj256ELj8ELj64ELN6hipcub17WarpLoadAlgorithmE2EdEvPT3_S3_,"axG",@progbits,_Z16warp_load_kernelILj256ELj8ELj64ELN6hipcub17WarpLoadAlgorithmE2EdEvPT3_S3_,comdat
	.protected	_Z16warp_load_kernelILj256ELj8ELj64ELN6hipcub17WarpLoadAlgorithmE2EdEvPT3_S3_ ; -- Begin function _Z16warp_load_kernelILj256ELj8ELj64ELN6hipcub17WarpLoadAlgorithmE2EdEvPT3_S3_
	.globl	_Z16warp_load_kernelILj256ELj8ELj64ELN6hipcub17WarpLoadAlgorithmE2EdEvPT3_S3_
	.p2align	8
	.type	_Z16warp_load_kernelILj256ELj8ELj64ELN6hipcub17WarpLoadAlgorithmE2EdEvPT3_S3_,@function
_Z16warp_load_kernelILj256ELj8ELj64ELN6hipcub17WarpLoadAlgorithmE2EdEvPT3_S3_: ; @_Z16warp_load_kernelILj256ELj8ELj64ELN6hipcub17WarpLoadAlgorithmE2EdEvPT3_S3_
; %bb.0:
	s_load_dwordx4 s[0:3], s[4:5], 0x0
	v_lshlrev_b32_e32 v2, 3, v0
	s_lshl_b32 s4, s6, 11
	v_and_b32_e32 v2, 0x600, v2
	v_or_b32_e32 v18, s4, v2
	v_mov_b32_e32 v19, 0
	v_mbcnt_lo_u32_b32 v1, -1, 0
	v_lshlrev_b64 v[2:3], 3, v[18:19]
	v_mbcnt_hi_u32_b32 v1, -1, v1
	s_waitcnt lgkmcnt(0)
	v_mov_b32_e32 v4, s1
	v_add_co_u32_e32 v2, vcc, s0, v2
	v_addc_co_u32_e32 v3, vcc, v4, v3, vcc
	v_lshlrev_b32_e32 v1, 6, v1
	v_add_co_u32_e32 v20, vcc, v2, v1
	v_addc_co_u32_e32 v21, vcc, 0, v3, vcc
	global_load_dwordx4 v[2:5], v[20:21], off
	global_load_dwordx4 v[6:9], v[20:21], off offset:16
	global_load_dwordx4 v[10:13], v[20:21], off offset:32
	;; [unrolled: 1-line block ×3, first 2 shown]
	v_or_b32_e32 v18, s4, v0
	v_lshlrev_b64 v[28:29], 3, v[18:19]
	v_mov_b32_e32 v1, v19
	v_or_b32_e32 v0, 0x200, v18
	v_mov_b32_e32 v30, s3
	v_add_co_u32_e32 v28, vcc, s2, v28
	v_lshlrev_b64 v[0:1], 3, v[0:1]
	v_addc_co_u32_e32 v29, vcc, v30, v29, vcc
	v_mov_b32_e32 v21, v19
	v_or_b32_e32 v20, 0x300, v18
	v_mov_b32_e32 v31, s3
	v_add_co_u32_e32 v0, vcc, s2, v0
	v_lshlrev_b64 v[20:21], 3, v[20:21]
	v_addc_co_u32_e32 v1, vcc, v31, v1, vcc
	;; [unrolled: 6-line block ×5, first 2 shown]
	v_or_b32_e32 v18, 0x700, v18
	v_mov_b32_e32 v35, s3
	v_add_co_u32_e32 v26, vcc, s2, v26
	v_lshlrev_b64 v[18:19], 3, v[18:19]
	v_addc_co_u32_e32 v27, vcc, v35, v27, vcc
	v_mov_b32_e32 v36, s3
	v_add_co_u32_e32 v18, vcc, s2, v18
	v_addc_co_u32_e32 v19, vcc, v36, v19, vcc
	s_waitcnt vmcnt(3)
	global_store_dwordx2 v[28:29], v[2:3], off
	global_store_dwordx2 v[28:29], v[4:5], off offset:2048
	s_waitcnt vmcnt(4)
	global_store_dwordx2 v[0:1], v[6:7], off
	global_store_dwordx2 v[20:21], v[8:9], off
	s_waitcnt vmcnt(5)
	global_store_dwordx2 v[22:23], v[10:11], off
	global_store_dwordx2 v[24:25], v[12:13], off
	;; [unrolled: 3-line block ×3, first 2 shown]
	s_endpgm
	.section	.rodata,"a",@progbits
	.p2align	6, 0x0
	.amdhsa_kernel _Z16warp_load_kernelILj256ELj8ELj64ELN6hipcub17WarpLoadAlgorithmE2EdEvPT3_S3_
		.amdhsa_group_segment_fixed_size 0
		.amdhsa_private_segment_fixed_size 0
		.amdhsa_kernarg_size 16
		.amdhsa_user_sgpr_count 6
		.amdhsa_user_sgpr_private_segment_buffer 1
		.amdhsa_user_sgpr_dispatch_ptr 0
		.amdhsa_user_sgpr_queue_ptr 0
		.amdhsa_user_sgpr_kernarg_segment_ptr 1
		.amdhsa_user_sgpr_dispatch_id 0
		.amdhsa_user_sgpr_flat_scratch_init 0
		.amdhsa_user_sgpr_kernarg_preload_length 0
		.amdhsa_user_sgpr_kernarg_preload_offset 0
		.amdhsa_user_sgpr_private_segment_size 0
		.amdhsa_uses_dynamic_stack 0
		.amdhsa_system_sgpr_private_segment_wavefront_offset 0
		.amdhsa_system_sgpr_workgroup_id_x 1
		.amdhsa_system_sgpr_workgroup_id_y 0
		.amdhsa_system_sgpr_workgroup_id_z 0
		.amdhsa_system_sgpr_workgroup_info 0
		.amdhsa_system_vgpr_workitem_id 0
		.amdhsa_next_free_vgpr 37
		.amdhsa_next_free_sgpr 7
		.amdhsa_accum_offset 40
		.amdhsa_reserve_vcc 1
		.amdhsa_reserve_flat_scratch 0
		.amdhsa_float_round_mode_32 0
		.amdhsa_float_round_mode_16_64 0
		.amdhsa_float_denorm_mode_32 3
		.amdhsa_float_denorm_mode_16_64 3
		.amdhsa_dx10_clamp 1
		.amdhsa_ieee_mode 1
		.amdhsa_fp16_overflow 0
		.amdhsa_tg_split 0
		.amdhsa_exception_fp_ieee_invalid_op 0
		.amdhsa_exception_fp_denorm_src 0
		.amdhsa_exception_fp_ieee_div_zero 0
		.amdhsa_exception_fp_ieee_overflow 0
		.amdhsa_exception_fp_ieee_underflow 0
		.amdhsa_exception_fp_ieee_inexact 0
		.amdhsa_exception_int_div_zero 0
	.end_amdhsa_kernel
	.section	.text._Z16warp_load_kernelILj256ELj8ELj64ELN6hipcub17WarpLoadAlgorithmE2EdEvPT3_S3_,"axG",@progbits,_Z16warp_load_kernelILj256ELj8ELj64ELN6hipcub17WarpLoadAlgorithmE2EdEvPT3_S3_,comdat
.Lfunc_end62:
	.size	_Z16warp_load_kernelILj256ELj8ELj64ELN6hipcub17WarpLoadAlgorithmE2EdEvPT3_S3_, .Lfunc_end62-_Z16warp_load_kernelILj256ELj8ELj64ELN6hipcub17WarpLoadAlgorithmE2EdEvPT3_S3_
                                        ; -- End function
	.section	.AMDGPU.csdata,"",@progbits
; Kernel info:
; codeLenInByte = 412
; NumSgprs: 11
; NumVgprs: 37
; NumAgprs: 0
; TotalNumVgprs: 37
; ScratchSize: 0
; MemoryBound: 0
; FloatMode: 240
; IeeeMode: 1
; LDSByteSize: 0 bytes/workgroup (compile time only)
; SGPRBlocks: 1
; VGPRBlocks: 4
; NumSGPRsForWavesPerEU: 11
; NumVGPRsForWavesPerEU: 37
; AccumOffset: 40
; Occupancy: 8
; WaveLimiterHint : 1
; COMPUTE_PGM_RSRC2:SCRATCH_EN: 0
; COMPUTE_PGM_RSRC2:USER_SGPR: 6
; COMPUTE_PGM_RSRC2:TRAP_HANDLER: 0
; COMPUTE_PGM_RSRC2:TGID_X_EN: 1
; COMPUTE_PGM_RSRC2:TGID_Y_EN: 0
; COMPUTE_PGM_RSRC2:TGID_Z_EN: 0
; COMPUTE_PGM_RSRC2:TIDIG_COMP_CNT: 0
; COMPUTE_PGM_RSRC3_GFX90A:ACCUM_OFFSET: 9
; COMPUTE_PGM_RSRC3_GFX90A:TG_SPLIT: 0
	.section	.text._Z16warp_load_kernelILj256ELj8ELj64ELN6hipcub17WarpLoadAlgorithmE3EdEvPT3_S3_,"axG",@progbits,_Z16warp_load_kernelILj256ELj8ELj64ELN6hipcub17WarpLoadAlgorithmE3EdEvPT3_S3_,comdat
	.protected	_Z16warp_load_kernelILj256ELj8ELj64ELN6hipcub17WarpLoadAlgorithmE3EdEvPT3_S3_ ; -- Begin function _Z16warp_load_kernelILj256ELj8ELj64ELN6hipcub17WarpLoadAlgorithmE3EdEvPT3_S3_
	.globl	_Z16warp_load_kernelILj256ELj8ELj64ELN6hipcub17WarpLoadAlgorithmE3EdEvPT3_S3_
	.p2align	8
	.type	_Z16warp_load_kernelILj256ELj8ELj64ELN6hipcub17WarpLoadAlgorithmE3EdEvPT3_S3_,@function
_Z16warp_load_kernelILj256ELj8ELj64ELN6hipcub17WarpLoadAlgorithmE3EdEvPT3_S3_: ; @_Z16warp_load_kernelILj256ELj8ELj64ELN6hipcub17WarpLoadAlgorithmE3EdEvPT3_S3_
; %bb.0:
	s_load_dwordx4 s[0:3], s[4:5], 0x0
	v_lshrrev_b32_e32 v22, 6, v0
	s_lshl_b32 s4, s6, 11
	v_lshl_or_b32 v16, v22, 9, s4
	v_mov_b32_e32 v17, 0
	v_mbcnt_lo_u32_b32 v1, -1, 0
	v_lshlrev_b64 v[2:3], 3, v[16:17]
	v_mbcnt_hi_u32_b32 v1, -1, v1
	s_waitcnt lgkmcnt(0)
	v_mov_b32_e32 v4, s1
	v_add_co_u32_e32 v2, vcc, s0, v2
	v_addc_co_u32_e32 v3, vcc, v4, v3, vcc
	v_lshlrev_b32_e32 v16, 3, v1
	v_add_co_u32_e32 v2, vcc, v2, v16
	v_lshlrev_b32_e32 v24, 6, v1
	v_addc_co_u32_e32 v3, vcc, 0, v3, vcc
	v_and_b32_e32 v1, 0x1000, v24
	v_add_co_u32_e32 v2, vcc, v2, v1
	v_addc_co_u32_e32 v3, vcc, 0, v3, vcc
	global_load_dwordx2 v[4:5], v[2:3], off
	global_load_dwordx2 v[6:7], v[2:3], off offset:512
	global_load_dwordx2 v[8:9], v[2:3], off offset:1024
	;; [unrolled: 1-line block ×7, first 2 shown]
	v_lshlrev_b32_e32 v2, 12, v22
	v_or_b32_e32 v34, v2, v16
	v_or_b32_e32 v16, s4, v0
	v_lshlrev_b64 v[28:29], 3, v[16:17]
	v_mov_b32_e32 v1, v17
	v_or_b32_e32 v0, 0x200, v16
	v_mov_b32_e32 v30, s3
	v_add_co_u32_e32 v28, vcc, s2, v28
	v_lshlrev_b64 v[0:1], 3, v[0:1]
	v_addc_co_u32_e32 v29, vcc, v30, v29, vcc
	v_mov_b32_e32 v3, v17
	v_add_u32_e32 v35, v2, v24
	v_or_b32_e32 v2, 0x300, v16
	v_mov_b32_e32 v31, s3
	v_add_co_u32_e32 v30, vcc, s2, v0
	v_lshlrev_b64 v[2:3], 3, v[2:3]
	v_addc_co_u32_e32 v31, vcc, v31, v1, vcc
	v_mov_b32_e32 v23, v17
	v_or_b32_e32 v22, 0x400, v16
	v_mov_b32_e32 v33, s3
	v_add_co_u32_e32 v32, vcc, s2, v2
	v_lshlrev_b64 v[22:23], 3, v[22:23]
	v_addc_co_u32_e32 v33, vcc, v33, v3, vcc
	v_mov_b32_e32 v25, v17
	;; [unrolled: 6-line block ×3, first 2 shown]
	v_or_b32_e32 v26, 0x600, v16
	v_mov_b32_e32 v37, s3
	v_lshlrev_b64 v[26:27], 3, v[26:27]
	v_or_b32_e32 v16, 0x700, v16
	s_waitcnt vmcnt(6)
	ds_write2st64_b64 v34, v[4:5], v[6:7] offset1:1
	s_waitcnt vmcnt(4)
	ds_write2st64_b64 v34, v[8:9], v[10:11] offset0:2 offset1:3
	s_waitcnt vmcnt(2)
	ds_write2st64_b64 v34, v[12:13], v[14:15] offset0:4 offset1:5
	;; [unrolled: 2-line block ×3, first 2 shown]
	; wave barrier
	ds_read_b128 v[0:3], v35
	ds_read_b128 v[4:7], v35 offset:16
	ds_read_b128 v[8:11], v35 offset:32
	;; [unrolled: 1-line block ×3, first 2 shown]
	v_add_co_u32_e32 v18, vcc, s2, v24
	v_addc_co_u32_e32 v19, vcc, v37, v25, vcc
	s_waitcnt lgkmcnt(3)
	global_store_dwordx2 v[28:29], v[0:1], off
	global_store_dwordx2 v[28:29], v[2:3], off offset:2048
	s_waitcnt lgkmcnt(2)
	global_store_dwordx2 v[30:31], v[4:5], off
	global_store_dwordx2 v[32:33], v[6:7], off
	s_waitcnt lgkmcnt(1)
	global_store_dwordx2 v[22:23], v[8:9], off
	global_store_dwordx2 v[18:19], v[10:11], off
	v_mov_b32_e32 v1, s3
	v_add_co_u32_e32 v0, vcc, s2, v26
	v_addc_co_u32_e32 v1, vcc, v1, v27, vcc
	s_waitcnt lgkmcnt(0)
	global_store_dwordx2 v[0:1], v[12:13], off
	v_lshlrev_b64 v[0:1], 3, v[16:17]
	v_mov_b32_e32 v2, s3
	v_add_co_u32_e32 v0, vcc, s2, v0
	v_addc_co_u32_e32 v1, vcc, v2, v1, vcc
	global_store_dwordx2 v[0:1], v[14:15], off
	s_endpgm
	.section	.rodata,"a",@progbits
	.p2align	6, 0x0
	.amdhsa_kernel _Z16warp_load_kernelILj256ELj8ELj64ELN6hipcub17WarpLoadAlgorithmE3EdEvPT3_S3_
		.amdhsa_group_segment_fixed_size 16384
		.amdhsa_private_segment_fixed_size 0
		.amdhsa_kernarg_size 16
		.amdhsa_user_sgpr_count 6
		.amdhsa_user_sgpr_private_segment_buffer 1
		.amdhsa_user_sgpr_dispatch_ptr 0
		.amdhsa_user_sgpr_queue_ptr 0
		.amdhsa_user_sgpr_kernarg_segment_ptr 1
		.amdhsa_user_sgpr_dispatch_id 0
		.amdhsa_user_sgpr_flat_scratch_init 0
		.amdhsa_user_sgpr_kernarg_preload_length 0
		.amdhsa_user_sgpr_kernarg_preload_offset 0
		.amdhsa_user_sgpr_private_segment_size 0
		.amdhsa_uses_dynamic_stack 0
		.amdhsa_system_sgpr_private_segment_wavefront_offset 0
		.amdhsa_system_sgpr_workgroup_id_x 1
		.amdhsa_system_sgpr_workgroup_id_y 0
		.amdhsa_system_sgpr_workgroup_id_z 0
		.amdhsa_system_sgpr_workgroup_info 0
		.amdhsa_system_vgpr_workitem_id 0
		.amdhsa_next_free_vgpr 38
		.amdhsa_next_free_sgpr 7
		.amdhsa_accum_offset 40
		.amdhsa_reserve_vcc 1
		.amdhsa_reserve_flat_scratch 0
		.amdhsa_float_round_mode_32 0
		.amdhsa_float_round_mode_16_64 0
		.amdhsa_float_denorm_mode_32 3
		.amdhsa_float_denorm_mode_16_64 3
		.amdhsa_dx10_clamp 1
		.amdhsa_ieee_mode 1
		.amdhsa_fp16_overflow 0
		.amdhsa_tg_split 0
		.amdhsa_exception_fp_ieee_invalid_op 0
		.amdhsa_exception_fp_denorm_src 0
		.amdhsa_exception_fp_ieee_div_zero 0
		.amdhsa_exception_fp_ieee_overflow 0
		.amdhsa_exception_fp_ieee_underflow 0
		.amdhsa_exception_fp_ieee_inexact 0
		.amdhsa_exception_int_div_zero 0
	.end_amdhsa_kernel
	.section	.text._Z16warp_load_kernelILj256ELj8ELj64ELN6hipcub17WarpLoadAlgorithmE3EdEvPT3_S3_,"axG",@progbits,_Z16warp_load_kernelILj256ELj8ELj64ELN6hipcub17WarpLoadAlgorithmE3EdEvPT3_S3_,comdat
.Lfunc_end63:
	.size	_Z16warp_load_kernelILj256ELj8ELj64ELN6hipcub17WarpLoadAlgorithmE3EdEvPT3_S3_, .Lfunc_end63-_Z16warp_load_kernelILj256ELj8ELj64ELN6hipcub17WarpLoadAlgorithmE3EdEvPT3_S3_
                                        ; -- End function
	.section	.AMDGPU.csdata,"",@progbits
; Kernel info:
; codeLenInByte = 552
; NumSgprs: 11
; NumVgprs: 38
; NumAgprs: 0
; TotalNumVgprs: 38
; ScratchSize: 0
; MemoryBound: 1
; FloatMode: 240
; IeeeMode: 1
; LDSByteSize: 16384 bytes/workgroup (compile time only)
; SGPRBlocks: 1
; VGPRBlocks: 4
; NumSGPRsForWavesPerEU: 11
; NumVGPRsForWavesPerEU: 38
; AccumOffset: 40
; Occupancy: 4
; WaveLimiterHint : 1
; COMPUTE_PGM_RSRC2:SCRATCH_EN: 0
; COMPUTE_PGM_RSRC2:USER_SGPR: 6
; COMPUTE_PGM_RSRC2:TRAP_HANDLER: 0
; COMPUTE_PGM_RSRC2:TGID_X_EN: 1
; COMPUTE_PGM_RSRC2:TGID_Y_EN: 0
; COMPUTE_PGM_RSRC2:TGID_Z_EN: 0
; COMPUTE_PGM_RSRC2:TIDIG_COMP_CNT: 0
; COMPUTE_PGM_RSRC3_GFX90A:ACCUM_OFFSET: 9
; COMPUTE_PGM_RSRC3_GFX90A:TG_SPLIT: 0
	.section	.text._Z16warp_load_kernelILj256ELj16ELj64ELN6hipcub17WarpLoadAlgorithmE0EdEvPT3_S3_,"axG",@progbits,_Z16warp_load_kernelILj256ELj16ELj64ELN6hipcub17WarpLoadAlgorithmE0EdEvPT3_S3_,comdat
	.protected	_Z16warp_load_kernelILj256ELj16ELj64ELN6hipcub17WarpLoadAlgorithmE0EdEvPT3_S3_ ; -- Begin function _Z16warp_load_kernelILj256ELj16ELj64ELN6hipcub17WarpLoadAlgorithmE0EdEvPT3_S3_
	.globl	_Z16warp_load_kernelILj256ELj16ELj64ELN6hipcub17WarpLoadAlgorithmE0EdEvPT3_S3_
	.p2align	8
	.type	_Z16warp_load_kernelILj256ELj16ELj64ELN6hipcub17WarpLoadAlgorithmE0EdEvPT3_S3_,@function
_Z16warp_load_kernelILj256ELj16ELj64ELN6hipcub17WarpLoadAlgorithmE0EdEvPT3_S3_: ; @_Z16warp_load_kernelILj256ELj16ELj64ELN6hipcub17WarpLoadAlgorithmE0EdEvPT3_S3_
; %bb.0:
	s_load_dwordx4 s[0:3], s[4:5], 0x0
	v_lshlrev_b32_e32 v2, 4, v0
	s_lshl_b32 s4, s6, 12
	v_and_b32_e32 v2, 0xc00, v2
	v_or_b32_e32 v2, s4, v2
	v_mov_b32_e32 v3, 0
	v_mbcnt_lo_u32_b32 v1, -1, 0
	v_lshlrev_b64 v[4:5], 3, v[2:3]
	v_mbcnt_hi_u32_b32 v1, -1, v1
	s_waitcnt lgkmcnt(0)
	v_mov_b32_e32 v2, s1
	v_add_co_u32_e32 v4, vcc, s0, v4
	v_addc_co_u32_e32 v2, vcc, v2, v5, vcc
	v_lshlrev_b32_e32 v1, 7, v1
	v_add_co_u32_e32 v36, vcc, v4, v1
	v_addc_co_u32_e32 v37, vcc, 0, v2, vcc
	global_load_dwordx4 v[4:7], v[36:37], off
	global_load_dwordx4 v[8:11], v[36:37], off offset:16
	global_load_dwordx4 v[12:15], v[36:37], off offset:32
	;; [unrolled: 1-line block ×5, first 2 shown]
	v_or_b32_e32 v2, s4, v0
	v_mov_b32_e32 v29, v3
	v_mov_b32_e32 v31, v3
	;; [unrolled: 1-line block ×4, first 2 shown]
	v_or_b32_e32 v28, 0x300, v2
	v_or_b32_e32 v30, 0x400, v2
	;; [unrolled: 1-line block ×4, first 2 shown]
	v_lshlrev_b64 v[42:43], 3, v[28:29]
	v_lshlrev_b64 v[44:45], 3, v[30:31]
	;; [unrolled: 1-line block ×4, first 2 shown]
	global_load_dwordx4 v[28:31], v[36:37], off offset:112
	global_load_dwordx4 v[32:35], v[36:37], off offset:96
	v_lshlrev_b64 v[40:41], 3, v[2:3]
	v_mov_b32_e32 v1, v3
	v_or_b32_e32 v0, 0x200, v2
	v_mov_b32_e32 v50, s3
	v_add_co_u32_e32 v36, vcc, s2, v40
	v_lshlrev_b64 v[0:1], 3, v[0:1]
	v_addc_co_u32_e32 v37, vcc, v50, v41, vcc
	v_mov_b32_e32 v51, s3
	v_add_co_u32_e32 v0, vcc, s2, v0
	v_addc_co_u32_e32 v1, vcc, v51, v1, vcc
	v_mov_b32_e32 v52, s3
	v_add_co_u32_e32 v40, vcc, s2, v42
	;; [unrolled: 3-line block ×4, first 2 shown]
	v_addc_co_u32_e32 v45, vcc, v54, v47, vcc
	v_mov_b32_e32 v39, v3
	v_or_b32_e32 v38, 0x700, v2
	v_mov_b32_e32 v55, s3
	v_add_co_u32_e32 v46, vcc, s2, v48
	v_lshlrev_b64 v[38:39], 3, v[38:39]
	v_addc_co_u32_e32 v47, vcc, v55, v49, vcc
	v_mov_b32_e32 v56, s3
	s_waitcnt vmcnt(7)
	global_store_dwordx2 v[36:37], v[4:5], off
	global_store_dwordx2 v[36:37], v[6:7], off offset:2048
	s_waitcnt vmcnt(8)
	global_store_dwordx2 v[0:1], v[8:9], off
	global_store_dwordx2 v[40:41], v[10:11], off
	s_waitcnt vmcnt(9)
	global_store_dwordx2 v[42:43], v[12:13], off
	global_store_dwordx2 v[44:45], v[14:15], off
	s_waitcnt vmcnt(10)
	global_store_dwordx2 v[46:47], v[16:17], off
	v_add_co_u32_e32 v0, vcc, s2, v38
	v_addc_co_u32_e32 v1, vcc, v56, v39, vcc
	global_store_dwordx2 v[0:1], v[18:19], off
	v_or_b32_e32 v0, 0x800, v2
	v_mov_b32_e32 v1, v3
	v_lshlrev_b64 v[0:1], 3, v[0:1]
	v_mov_b32_e32 v4, s3
	v_add_co_u32_e32 v0, vcc, s2, v0
	v_addc_co_u32_e32 v1, vcc, v4, v1, vcc
	s_waitcnt vmcnt(11)
	global_store_dwordx2 v[0:1], v[20:21], off
	v_or_b32_e32 v0, 0x900, v2
	v_mov_b32_e32 v1, v3
	v_lshlrev_b64 v[0:1], 3, v[0:1]
	v_add_co_u32_e32 v0, vcc, s2, v0
	v_addc_co_u32_e32 v1, vcc, v4, v1, vcc
	global_store_dwordx2 v[0:1], v[22:23], off
	v_or_b32_e32 v0, 0xa00, v2
	v_mov_b32_e32 v1, v3
	v_lshlrev_b64 v[0:1], 3, v[0:1]
	v_add_co_u32_e32 v0, vcc, s2, v0
	v_addc_co_u32_e32 v1, vcc, v4, v1, vcc
	s_waitcnt vmcnt(12)
	global_store_dwordx2 v[0:1], v[24:25], off
	v_or_b32_e32 v0, 0xb00, v2
	v_mov_b32_e32 v1, v3
	v_lshlrev_b64 v[0:1], 3, v[0:1]
	v_add_co_u32_e32 v0, vcc, s2, v0
	v_addc_co_u32_e32 v1, vcc, v4, v1, vcc
	global_store_dwordx2 v[0:1], v[26:27], off
	v_or_b32_e32 v0, 0xc00, v2
	v_mov_b32_e32 v1, v3
	v_lshlrev_b64 v[0:1], 3, v[0:1]
	;; [unrolled: 13-line block ×3, first 2 shown]
	v_add_co_u32_e32 v0, vcc, s2, v0
	v_addc_co_u32_e32 v1, vcc, v4, v1, vcc
	v_or_b32_e32 v2, 0xf00, v2
	global_store_dwordx2 v[0:1], v[28:29], off
	v_lshlrev_b64 v[0:1], 3, v[2:3]
	v_mov_b32_e32 v2, s3
	v_add_co_u32_e32 v0, vcc, s2, v0
	v_addc_co_u32_e32 v1, vcc, v2, v1, vcc
	global_store_dwordx2 v[0:1], v[30:31], off
	s_endpgm
	.section	.rodata,"a",@progbits
	.p2align	6, 0x0
	.amdhsa_kernel _Z16warp_load_kernelILj256ELj16ELj64ELN6hipcub17WarpLoadAlgorithmE0EdEvPT3_S3_
		.amdhsa_group_segment_fixed_size 0
		.amdhsa_private_segment_fixed_size 0
		.amdhsa_kernarg_size 16
		.amdhsa_user_sgpr_count 6
		.amdhsa_user_sgpr_private_segment_buffer 1
		.amdhsa_user_sgpr_dispatch_ptr 0
		.amdhsa_user_sgpr_queue_ptr 0
		.amdhsa_user_sgpr_kernarg_segment_ptr 1
		.amdhsa_user_sgpr_dispatch_id 0
		.amdhsa_user_sgpr_flat_scratch_init 0
		.amdhsa_user_sgpr_kernarg_preload_length 0
		.amdhsa_user_sgpr_kernarg_preload_offset 0
		.amdhsa_user_sgpr_private_segment_size 0
		.amdhsa_uses_dynamic_stack 0
		.amdhsa_system_sgpr_private_segment_wavefront_offset 0
		.amdhsa_system_sgpr_workgroup_id_x 1
		.amdhsa_system_sgpr_workgroup_id_y 0
		.amdhsa_system_sgpr_workgroup_id_z 0
		.amdhsa_system_sgpr_workgroup_info 0
		.amdhsa_system_vgpr_workitem_id 0
		.amdhsa_next_free_vgpr 57
		.amdhsa_next_free_sgpr 7
		.amdhsa_accum_offset 60
		.amdhsa_reserve_vcc 1
		.amdhsa_reserve_flat_scratch 0
		.amdhsa_float_round_mode_32 0
		.amdhsa_float_round_mode_16_64 0
		.amdhsa_float_denorm_mode_32 3
		.amdhsa_float_denorm_mode_16_64 3
		.amdhsa_dx10_clamp 1
		.amdhsa_ieee_mode 1
		.amdhsa_fp16_overflow 0
		.amdhsa_tg_split 0
		.amdhsa_exception_fp_ieee_invalid_op 0
		.amdhsa_exception_fp_denorm_src 0
		.amdhsa_exception_fp_ieee_div_zero 0
		.amdhsa_exception_fp_ieee_overflow 0
		.amdhsa_exception_fp_ieee_underflow 0
		.amdhsa_exception_fp_ieee_inexact 0
		.amdhsa_exception_int_div_zero 0
	.end_amdhsa_kernel
	.section	.text._Z16warp_load_kernelILj256ELj16ELj64ELN6hipcub17WarpLoadAlgorithmE0EdEvPT3_S3_,"axG",@progbits,_Z16warp_load_kernelILj256ELj16ELj64ELN6hipcub17WarpLoadAlgorithmE0EdEvPT3_S3_,comdat
.Lfunc_end64:
	.size	_Z16warp_load_kernelILj256ELj16ELj64ELN6hipcub17WarpLoadAlgorithmE0EdEvPT3_S3_, .Lfunc_end64-_Z16warp_load_kernelILj256ELj16ELj64ELN6hipcub17WarpLoadAlgorithmE0EdEvPT3_S3_
                                        ; -- End function
	.section	.AMDGPU.csdata,"",@progbits
; Kernel info:
; codeLenInByte = 752
; NumSgprs: 11
; NumVgprs: 57
; NumAgprs: 0
; TotalNumVgprs: 57
; ScratchSize: 0
; MemoryBound: 1
; FloatMode: 240
; IeeeMode: 1
; LDSByteSize: 0 bytes/workgroup (compile time only)
; SGPRBlocks: 1
; VGPRBlocks: 7
; NumSGPRsForWavesPerEU: 11
; NumVGPRsForWavesPerEU: 57
; AccumOffset: 60
; Occupancy: 8
; WaveLimiterHint : 1
; COMPUTE_PGM_RSRC2:SCRATCH_EN: 0
; COMPUTE_PGM_RSRC2:USER_SGPR: 6
; COMPUTE_PGM_RSRC2:TRAP_HANDLER: 0
; COMPUTE_PGM_RSRC2:TGID_X_EN: 1
; COMPUTE_PGM_RSRC2:TGID_Y_EN: 0
; COMPUTE_PGM_RSRC2:TGID_Z_EN: 0
; COMPUTE_PGM_RSRC2:TIDIG_COMP_CNT: 0
; COMPUTE_PGM_RSRC3_GFX90A:ACCUM_OFFSET: 14
; COMPUTE_PGM_RSRC3_GFX90A:TG_SPLIT: 0
	.section	.text._Z16warp_load_kernelILj256ELj16ELj64ELN6hipcub17WarpLoadAlgorithmE1EdEvPT3_S3_,"axG",@progbits,_Z16warp_load_kernelILj256ELj16ELj64ELN6hipcub17WarpLoadAlgorithmE1EdEvPT3_S3_,comdat
	.protected	_Z16warp_load_kernelILj256ELj16ELj64ELN6hipcub17WarpLoadAlgorithmE1EdEvPT3_S3_ ; -- Begin function _Z16warp_load_kernelILj256ELj16ELj64ELN6hipcub17WarpLoadAlgorithmE1EdEvPT3_S3_
	.globl	_Z16warp_load_kernelILj256ELj16ELj64ELN6hipcub17WarpLoadAlgorithmE1EdEvPT3_S3_
	.p2align	8
	.type	_Z16warp_load_kernelILj256ELj16ELj64ELN6hipcub17WarpLoadAlgorithmE1EdEvPT3_S3_,@function
_Z16warp_load_kernelILj256ELj16ELj64ELN6hipcub17WarpLoadAlgorithmE1EdEvPT3_S3_: ; @_Z16warp_load_kernelILj256ELj16ELj64ELN6hipcub17WarpLoadAlgorithmE1EdEvPT3_S3_
; %bb.0:
	s_load_dwordx4 s[0:3], s[4:5], 0x0
	v_lshlrev_b32_e32 v2, 4, v0
	s_lshl_b32 s4, s6, 12
	v_and_b32_e32 v2, 0xc00, v2
	v_or_b32_e32 v2, s4, v2
	v_mov_b32_e32 v3, 0
	v_mbcnt_lo_u32_b32 v1, -1, 0
	v_lshlrev_b64 v[4:5], 3, v[2:3]
	v_mbcnt_hi_u32_b32 v1, -1, v1
	s_waitcnt lgkmcnt(0)
	v_mov_b32_e32 v2, s1
	v_add_co_u32_e32 v4, vcc, s0, v4
	v_addc_co_u32_e32 v2, vcc, v2, v5, vcc
	v_lshlrev_b32_e32 v5, 3, v1
	v_add_co_u32_e32 v4, vcc, v4, v5
	v_lshlrev_b32_e32 v1, 7, v1
	v_addc_co_u32_e32 v2, vcc, 0, v2, vcc
	v_and_b32_e32 v1, 0x2000, v1
	v_add_co_u32_e32 v4, vcc, v4, v1
	v_addc_co_u32_e32 v5, vcc, 0, v2, vcc
	global_load_dwordx2 v[6:7], v[4:5], off
	global_load_dwordx2 v[8:9], v[4:5], off offset:512
	global_load_dwordx2 v[10:11], v[4:5], off offset:1024
	;; [unrolled: 1-line block ×7, first 2 shown]
	s_movk_i32 s0, 0x1000
	v_add_co_u32_e32 v4, vcc, s0, v4
	v_addc_co_u32_e32 v5, vcc, 0, v5, vcc
	global_load_dwordx2 v[22:23], v[4:5], off
	global_load_dwordx2 v[32:33], v[4:5], off offset:512
	global_load_dwordx2 v[34:35], v[4:5], off offset:1024
	v_or_b32_e32 v2, s4, v0
	v_lshlrev_b64 v[30:31], 3, v[2:3]
	v_mov_b32_e32 v1, v3
	v_or_b32_e32 v0, 0x200, v2
	v_mov_b32_e32 v36, s3
	v_add_co_u32_e32 v30, vcc, s2, v30
	v_lshlrev_b64 v[0:1], 3, v[0:1]
	v_addc_co_u32_e32 v31, vcc, v36, v31, vcc
	global_load_dwordx2 v[36:37], v[4:5], off offset:1536
	v_mov_b32_e32 v25, v3
	v_or_b32_e32 v24, 0x300, v2
	v_mov_b32_e32 v38, s3
	v_add_co_u32_e32 v0, vcc, s2, v0
	v_lshlrev_b64 v[24:25], 3, v[24:25]
	v_addc_co_u32_e32 v1, vcc, v38, v1, vcc
	v_mov_b32_e32 v39, s3
	v_add_co_u32_e32 v24, vcc, s2, v24
	v_addc_co_u32_e32 v25, vcc, v39, v25, vcc
	global_load_dwordx2 v[38:39], v[4:5], off offset:2048
	v_mov_b32_e32 v27, v3
	v_or_b32_e32 v26, 0x400, v2
	v_lshlrev_b64 v[26:27], 3, v[26:27]
	v_mov_b32_e32 v40, s3
	v_add_co_u32_e32 v26, vcc, s2, v26
	v_addc_co_u32_e32 v27, vcc, v40, v27, vcc
	global_load_dwordx2 v[40:41], v[4:5], off offset:2560
	global_load_dwordx2 v[42:43], v[4:5], off offset:3072
	;; [unrolled: 1-line block ×3, first 2 shown]
	v_mov_b32_e32 v29, v3
	v_or_b32_e32 v28, 0x500, v2
	v_lshlrev_b64 v[28:29], 3, v[28:29]
	v_mov_b32_e32 v46, s3
	v_mov_b32_e32 v4, s3
	s_waitcnt vmcnt(15)
	global_store_dwordx2 v[30:31], v[6:7], off
	s_waitcnt vmcnt(15)
	global_store_dwordx2 v[30:31], v[8:9], off offset:2048
	s_waitcnt vmcnt(15)
	global_store_dwordx2 v[0:1], v[10:11], off
	s_waitcnt vmcnt(15)
	global_store_dwordx2 v[24:25], v[12:13], off
	;; [unrolled: 2-line block ×3, first 2 shown]
	v_add_co_u32_e32 v0, vcc, s2, v28
	v_addc_co_u32_e32 v1, vcc, v46, v29, vcc
	s_waitcnt vmcnt(15)
	global_store_dwordx2 v[0:1], v[16:17], off
	v_or_b32_e32 v0, 0x600, v2
	v_mov_b32_e32 v1, v3
	v_lshlrev_b64 v[0:1], 3, v[0:1]
	v_add_co_u32_e32 v0, vcc, s2, v0
	v_addc_co_u32_e32 v1, vcc, v4, v1, vcc
	s_waitcnt vmcnt(15)
	global_store_dwordx2 v[0:1], v[18:19], off
	v_or_b32_e32 v0, 0x700, v2
	v_mov_b32_e32 v1, v3
	v_lshlrev_b64 v[0:1], 3, v[0:1]
	;; [unrolled: 7-line block ×9, first 2 shown]
	v_add_co_u32_e32 v0, vcc, s2, v0
	v_addc_co_u32_e32 v1, vcc, v4, v1, vcc
	v_or_b32_e32 v2, 0xf00, v2
	s_waitcnt vmcnt(15)
	global_store_dwordx2 v[0:1], v[42:43], off
	v_lshlrev_b64 v[0:1], 3, v[2:3]
	v_mov_b32_e32 v2, s3
	v_add_co_u32_e32 v0, vcc, s2, v0
	v_addc_co_u32_e32 v1, vcc, v2, v1, vcc
	s_waitcnt vmcnt(15)
	global_store_dwordx2 v[0:1], v[44:45], off
	s_endpgm
	.section	.rodata,"a",@progbits
	.p2align	6, 0x0
	.amdhsa_kernel _Z16warp_load_kernelILj256ELj16ELj64ELN6hipcub17WarpLoadAlgorithmE1EdEvPT3_S3_
		.amdhsa_group_segment_fixed_size 0
		.amdhsa_private_segment_fixed_size 0
		.amdhsa_kernarg_size 16
		.amdhsa_user_sgpr_count 6
		.amdhsa_user_sgpr_private_segment_buffer 1
		.amdhsa_user_sgpr_dispatch_ptr 0
		.amdhsa_user_sgpr_queue_ptr 0
		.amdhsa_user_sgpr_kernarg_segment_ptr 1
		.amdhsa_user_sgpr_dispatch_id 0
		.amdhsa_user_sgpr_flat_scratch_init 0
		.amdhsa_user_sgpr_kernarg_preload_length 0
		.amdhsa_user_sgpr_kernarg_preload_offset 0
		.amdhsa_user_sgpr_private_segment_size 0
		.amdhsa_uses_dynamic_stack 0
		.amdhsa_system_sgpr_private_segment_wavefront_offset 0
		.amdhsa_system_sgpr_workgroup_id_x 1
		.amdhsa_system_sgpr_workgroup_id_y 0
		.amdhsa_system_sgpr_workgroup_id_z 0
		.amdhsa_system_sgpr_workgroup_info 0
		.amdhsa_system_vgpr_workitem_id 0
		.amdhsa_next_free_vgpr 47
		.amdhsa_next_free_sgpr 7
		.amdhsa_accum_offset 48
		.amdhsa_reserve_vcc 1
		.amdhsa_reserve_flat_scratch 0
		.amdhsa_float_round_mode_32 0
		.amdhsa_float_round_mode_16_64 0
		.amdhsa_float_denorm_mode_32 3
		.amdhsa_float_denorm_mode_16_64 3
		.amdhsa_dx10_clamp 1
		.amdhsa_ieee_mode 1
		.amdhsa_fp16_overflow 0
		.amdhsa_tg_split 0
		.amdhsa_exception_fp_ieee_invalid_op 0
		.amdhsa_exception_fp_denorm_src 0
		.amdhsa_exception_fp_ieee_div_zero 0
		.amdhsa_exception_fp_ieee_overflow 0
		.amdhsa_exception_fp_ieee_underflow 0
		.amdhsa_exception_fp_ieee_inexact 0
		.amdhsa_exception_int_div_zero 0
	.end_amdhsa_kernel
	.section	.text._Z16warp_load_kernelILj256ELj16ELj64ELN6hipcub17WarpLoadAlgorithmE1EdEvPT3_S3_,"axG",@progbits,_Z16warp_load_kernelILj256ELj16ELj64ELN6hipcub17WarpLoadAlgorithmE1EdEvPT3_S3_,comdat
.Lfunc_end65:
	.size	_Z16warp_load_kernelILj256ELj16ELj64ELN6hipcub17WarpLoadAlgorithmE1EdEvPT3_S3_, .Lfunc_end65-_Z16warp_load_kernelILj256ELj16ELj64ELN6hipcub17WarpLoadAlgorithmE1EdEvPT3_S3_
                                        ; -- End function
	.section	.AMDGPU.csdata,"",@progbits
; Kernel info:
; codeLenInByte = 876
; NumSgprs: 11
; NumVgprs: 47
; NumAgprs: 0
; TotalNumVgprs: 47
; ScratchSize: 0
; MemoryBound: 1
; FloatMode: 240
; IeeeMode: 1
; LDSByteSize: 0 bytes/workgroup (compile time only)
; SGPRBlocks: 1
; VGPRBlocks: 5
; NumSGPRsForWavesPerEU: 11
; NumVGPRsForWavesPerEU: 47
; AccumOffset: 48
; Occupancy: 8
; WaveLimiterHint : 1
; COMPUTE_PGM_RSRC2:SCRATCH_EN: 0
; COMPUTE_PGM_RSRC2:USER_SGPR: 6
; COMPUTE_PGM_RSRC2:TRAP_HANDLER: 0
; COMPUTE_PGM_RSRC2:TGID_X_EN: 1
; COMPUTE_PGM_RSRC2:TGID_Y_EN: 0
; COMPUTE_PGM_RSRC2:TGID_Z_EN: 0
; COMPUTE_PGM_RSRC2:TIDIG_COMP_CNT: 0
; COMPUTE_PGM_RSRC3_GFX90A:ACCUM_OFFSET: 11
; COMPUTE_PGM_RSRC3_GFX90A:TG_SPLIT: 0
	.section	.text._Z16warp_load_kernelILj256ELj16ELj64ELN6hipcub17WarpLoadAlgorithmE2EdEvPT3_S3_,"axG",@progbits,_Z16warp_load_kernelILj256ELj16ELj64ELN6hipcub17WarpLoadAlgorithmE2EdEvPT3_S3_,comdat
	.protected	_Z16warp_load_kernelILj256ELj16ELj64ELN6hipcub17WarpLoadAlgorithmE2EdEvPT3_S3_ ; -- Begin function _Z16warp_load_kernelILj256ELj16ELj64ELN6hipcub17WarpLoadAlgorithmE2EdEvPT3_S3_
	.globl	_Z16warp_load_kernelILj256ELj16ELj64ELN6hipcub17WarpLoadAlgorithmE2EdEvPT3_S3_
	.p2align	8
	.type	_Z16warp_load_kernelILj256ELj16ELj64ELN6hipcub17WarpLoadAlgorithmE2EdEvPT3_S3_,@function
_Z16warp_load_kernelILj256ELj16ELj64ELN6hipcub17WarpLoadAlgorithmE2EdEvPT3_S3_: ; @_Z16warp_load_kernelILj256ELj16ELj64ELN6hipcub17WarpLoadAlgorithmE2EdEvPT3_S3_
; %bb.0:
	s_load_dwordx4 s[0:3], s[4:5], 0x0
	v_lshlrev_b32_e32 v2, 4, v0
	s_lshl_b32 s4, s6, 12
	v_and_b32_e32 v2, 0xc00, v2
	v_or_b32_e32 v2, s4, v2
	v_mov_b32_e32 v3, 0
	v_mbcnt_lo_u32_b32 v1, -1, 0
	v_lshlrev_b64 v[4:5], 3, v[2:3]
	v_mbcnt_hi_u32_b32 v1, -1, v1
	s_waitcnt lgkmcnt(0)
	v_mov_b32_e32 v2, s1
	v_add_co_u32_e32 v4, vcc, s0, v4
	v_addc_co_u32_e32 v2, vcc, v2, v5, vcc
	v_lshlrev_b32_e32 v1, 7, v1
	v_add_co_u32_e32 v36, vcc, v4, v1
	v_addc_co_u32_e32 v37, vcc, 0, v2, vcc
	global_load_dwordx4 v[4:7], v[36:37], off
	global_load_dwordx4 v[8:11], v[36:37], off offset:16
	global_load_dwordx4 v[12:15], v[36:37], off offset:32
	global_load_dwordx4 v[16:19], v[36:37], off offset:48
	global_load_dwordx4 v[20:23], v[36:37], off offset:64
	global_load_dwordx4 v[24:27], v[36:37], off offset:80
	v_or_b32_e32 v2, s4, v0
	v_mov_b32_e32 v29, v3
	v_mov_b32_e32 v31, v3
	;; [unrolled: 1-line block ×4, first 2 shown]
	v_or_b32_e32 v28, 0x300, v2
	v_or_b32_e32 v30, 0x400, v2
	;; [unrolled: 1-line block ×4, first 2 shown]
	v_lshlrev_b64 v[42:43], 3, v[28:29]
	v_lshlrev_b64 v[44:45], 3, v[30:31]
	;; [unrolled: 1-line block ×4, first 2 shown]
	global_load_dwordx4 v[28:31], v[36:37], off offset:112
	global_load_dwordx4 v[32:35], v[36:37], off offset:96
	v_lshlrev_b64 v[40:41], 3, v[2:3]
	v_mov_b32_e32 v1, v3
	v_or_b32_e32 v0, 0x200, v2
	v_mov_b32_e32 v50, s3
	v_add_co_u32_e32 v36, vcc, s2, v40
	v_lshlrev_b64 v[0:1], 3, v[0:1]
	v_addc_co_u32_e32 v37, vcc, v50, v41, vcc
	v_mov_b32_e32 v51, s3
	v_add_co_u32_e32 v0, vcc, s2, v0
	v_addc_co_u32_e32 v1, vcc, v51, v1, vcc
	v_mov_b32_e32 v52, s3
	v_add_co_u32_e32 v40, vcc, s2, v42
	;; [unrolled: 3-line block ×4, first 2 shown]
	v_addc_co_u32_e32 v45, vcc, v54, v47, vcc
	v_mov_b32_e32 v39, v3
	v_or_b32_e32 v38, 0x700, v2
	v_mov_b32_e32 v55, s3
	v_add_co_u32_e32 v46, vcc, s2, v48
	v_lshlrev_b64 v[38:39], 3, v[38:39]
	v_addc_co_u32_e32 v47, vcc, v55, v49, vcc
	v_mov_b32_e32 v56, s3
	s_waitcnt vmcnt(7)
	global_store_dwordx2 v[36:37], v[4:5], off
	global_store_dwordx2 v[36:37], v[6:7], off offset:2048
	s_waitcnt vmcnt(8)
	global_store_dwordx2 v[0:1], v[8:9], off
	global_store_dwordx2 v[40:41], v[10:11], off
	s_waitcnt vmcnt(9)
	global_store_dwordx2 v[42:43], v[12:13], off
	global_store_dwordx2 v[44:45], v[14:15], off
	s_waitcnt vmcnt(10)
	global_store_dwordx2 v[46:47], v[16:17], off
	v_add_co_u32_e32 v0, vcc, s2, v38
	v_addc_co_u32_e32 v1, vcc, v56, v39, vcc
	global_store_dwordx2 v[0:1], v[18:19], off
	v_or_b32_e32 v0, 0x800, v2
	v_mov_b32_e32 v1, v3
	v_lshlrev_b64 v[0:1], 3, v[0:1]
	v_mov_b32_e32 v4, s3
	v_add_co_u32_e32 v0, vcc, s2, v0
	v_addc_co_u32_e32 v1, vcc, v4, v1, vcc
	s_waitcnt vmcnt(11)
	global_store_dwordx2 v[0:1], v[20:21], off
	v_or_b32_e32 v0, 0x900, v2
	v_mov_b32_e32 v1, v3
	v_lshlrev_b64 v[0:1], 3, v[0:1]
	v_add_co_u32_e32 v0, vcc, s2, v0
	v_addc_co_u32_e32 v1, vcc, v4, v1, vcc
	global_store_dwordx2 v[0:1], v[22:23], off
	v_or_b32_e32 v0, 0xa00, v2
	v_mov_b32_e32 v1, v3
	v_lshlrev_b64 v[0:1], 3, v[0:1]
	v_add_co_u32_e32 v0, vcc, s2, v0
	v_addc_co_u32_e32 v1, vcc, v4, v1, vcc
	s_waitcnt vmcnt(12)
	global_store_dwordx2 v[0:1], v[24:25], off
	v_or_b32_e32 v0, 0xb00, v2
	v_mov_b32_e32 v1, v3
	v_lshlrev_b64 v[0:1], 3, v[0:1]
	v_add_co_u32_e32 v0, vcc, s2, v0
	v_addc_co_u32_e32 v1, vcc, v4, v1, vcc
	global_store_dwordx2 v[0:1], v[26:27], off
	v_or_b32_e32 v0, 0xc00, v2
	v_mov_b32_e32 v1, v3
	v_lshlrev_b64 v[0:1], 3, v[0:1]
	;; [unrolled: 13-line block ×3, first 2 shown]
	v_add_co_u32_e32 v0, vcc, s2, v0
	v_addc_co_u32_e32 v1, vcc, v4, v1, vcc
	v_or_b32_e32 v2, 0xf00, v2
	global_store_dwordx2 v[0:1], v[28:29], off
	v_lshlrev_b64 v[0:1], 3, v[2:3]
	v_mov_b32_e32 v2, s3
	v_add_co_u32_e32 v0, vcc, s2, v0
	v_addc_co_u32_e32 v1, vcc, v2, v1, vcc
	global_store_dwordx2 v[0:1], v[30:31], off
	s_endpgm
	.section	.rodata,"a",@progbits
	.p2align	6, 0x0
	.amdhsa_kernel _Z16warp_load_kernelILj256ELj16ELj64ELN6hipcub17WarpLoadAlgorithmE2EdEvPT3_S3_
		.amdhsa_group_segment_fixed_size 0
		.amdhsa_private_segment_fixed_size 0
		.amdhsa_kernarg_size 16
		.amdhsa_user_sgpr_count 6
		.amdhsa_user_sgpr_private_segment_buffer 1
		.amdhsa_user_sgpr_dispatch_ptr 0
		.amdhsa_user_sgpr_queue_ptr 0
		.amdhsa_user_sgpr_kernarg_segment_ptr 1
		.amdhsa_user_sgpr_dispatch_id 0
		.amdhsa_user_sgpr_flat_scratch_init 0
		.amdhsa_user_sgpr_kernarg_preload_length 0
		.amdhsa_user_sgpr_kernarg_preload_offset 0
		.amdhsa_user_sgpr_private_segment_size 0
		.amdhsa_uses_dynamic_stack 0
		.amdhsa_system_sgpr_private_segment_wavefront_offset 0
		.amdhsa_system_sgpr_workgroup_id_x 1
		.amdhsa_system_sgpr_workgroup_id_y 0
		.amdhsa_system_sgpr_workgroup_id_z 0
		.amdhsa_system_sgpr_workgroup_info 0
		.amdhsa_system_vgpr_workitem_id 0
		.amdhsa_next_free_vgpr 57
		.amdhsa_next_free_sgpr 7
		.amdhsa_accum_offset 60
		.amdhsa_reserve_vcc 1
		.amdhsa_reserve_flat_scratch 0
		.amdhsa_float_round_mode_32 0
		.amdhsa_float_round_mode_16_64 0
		.amdhsa_float_denorm_mode_32 3
		.amdhsa_float_denorm_mode_16_64 3
		.amdhsa_dx10_clamp 1
		.amdhsa_ieee_mode 1
		.amdhsa_fp16_overflow 0
		.amdhsa_tg_split 0
		.amdhsa_exception_fp_ieee_invalid_op 0
		.amdhsa_exception_fp_denorm_src 0
		.amdhsa_exception_fp_ieee_div_zero 0
		.amdhsa_exception_fp_ieee_overflow 0
		.amdhsa_exception_fp_ieee_underflow 0
		.amdhsa_exception_fp_ieee_inexact 0
		.amdhsa_exception_int_div_zero 0
	.end_amdhsa_kernel
	.section	.text._Z16warp_load_kernelILj256ELj16ELj64ELN6hipcub17WarpLoadAlgorithmE2EdEvPT3_S3_,"axG",@progbits,_Z16warp_load_kernelILj256ELj16ELj64ELN6hipcub17WarpLoadAlgorithmE2EdEvPT3_S3_,comdat
.Lfunc_end66:
	.size	_Z16warp_load_kernelILj256ELj16ELj64ELN6hipcub17WarpLoadAlgorithmE2EdEvPT3_S3_, .Lfunc_end66-_Z16warp_load_kernelILj256ELj16ELj64ELN6hipcub17WarpLoadAlgorithmE2EdEvPT3_S3_
                                        ; -- End function
	.section	.AMDGPU.csdata,"",@progbits
; Kernel info:
; codeLenInByte = 752
; NumSgprs: 11
; NumVgprs: 57
; NumAgprs: 0
; TotalNumVgprs: 57
; ScratchSize: 0
; MemoryBound: 1
; FloatMode: 240
; IeeeMode: 1
; LDSByteSize: 0 bytes/workgroup (compile time only)
; SGPRBlocks: 1
; VGPRBlocks: 7
; NumSGPRsForWavesPerEU: 11
; NumVGPRsForWavesPerEU: 57
; AccumOffset: 60
; Occupancy: 8
; WaveLimiterHint : 1
; COMPUTE_PGM_RSRC2:SCRATCH_EN: 0
; COMPUTE_PGM_RSRC2:USER_SGPR: 6
; COMPUTE_PGM_RSRC2:TRAP_HANDLER: 0
; COMPUTE_PGM_RSRC2:TGID_X_EN: 1
; COMPUTE_PGM_RSRC2:TGID_Y_EN: 0
; COMPUTE_PGM_RSRC2:TGID_Z_EN: 0
; COMPUTE_PGM_RSRC2:TIDIG_COMP_CNT: 0
; COMPUTE_PGM_RSRC3_GFX90A:ACCUM_OFFSET: 14
; COMPUTE_PGM_RSRC3_GFX90A:TG_SPLIT: 0
	.section	.text._Z16warp_load_kernelILj256ELj32ELj64ELN6hipcub17WarpLoadAlgorithmE0EdEvPT3_S3_,"axG",@progbits,_Z16warp_load_kernelILj256ELj32ELj64ELN6hipcub17WarpLoadAlgorithmE0EdEvPT3_S3_,comdat
	.protected	_Z16warp_load_kernelILj256ELj32ELj64ELN6hipcub17WarpLoadAlgorithmE0EdEvPT3_S3_ ; -- Begin function _Z16warp_load_kernelILj256ELj32ELj64ELN6hipcub17WarpLoadAlgorithmE0EdEvPT3_S3_
	.globl	_Z16warp_load_kernelILj256ELj32ELj64ELN6hipcub17WarpLoadAlgorithmE0EdEvPT3_S3_
	.p2align	8
	.type	_Z16warp_load_kernelILj256ELj32ELj64ELN6hipcub17WarpLoadAlgorithmE0EdEvPT3_S3_,@function
_Z16warp_load_kernelILj256ELj32ELj64ELN6hipcub17WarpLoadAlgorithmE0EdEvPT3_S3_: ; @_Z16warp_load_kernelILj256ELj32ELj64ELN6hipcub17WarpLoadAlgorithmE0EdEvPT3_S3_
; %bb.0:
	s_load_dwordx4 s[0:3], s[4:5], 0x0
	v_lshlrev_b32_e32 v2, 5, v0
	s_lshl_b32 s4, s6, 13
	v_and_b32_e32 v2, 0x1800, v2
	v_or_b32_e32 v2, s4, v2
	v_mov_b32_e32 v3, 0
	v_mbcnt_lo_u32_b32 v1, -1, 0
	v_lshlrev_b64 v[4:5], 3, v[2:3]
	v_mbcnt_hi_u32_b32 v1, -1, v1
	s_waitcnt lgkmcnt(0)
	v_mov_b32_e32 v2, s1
	v_add_co_u32_e32 v4, vcc, s0, v4
	v_addc_co_u32_e32 v2, vcc, v2, v5, vcc
	v_lshlrev_b32_e32 v1, 8, v1
	v_add_co_u32_e32 v68, vcc, v4, v1
	v_addc_co_u32_e32 v69, vcc, 0, v2, vcc
	global_load_dwordx4 v[4:7], v[68:69], off
	global_load_dwordx4 v[8:11], v[68:69], off offset:16
	global_load_dwordx4 v[12:15], v[68:69], off offset:32
	;; [unrolled: 1-line block ×5, first 2 shown]
	v_or_b32_e32 v2, s4, v0
	v_lshlrev_b64 v[36:37], 3, v[2:3]
	v_mov_b32_e32 v1, v3
	v_or_b32_e32 v0, 0x200, v2
	v_mov_b32_e32 v42, s3
	v_add_co_u32_e32 v72, vcc, s2, v36
	v_lshlrev_b64 v[0:1], 3, v[0:1]
	v_addc_co_u32_e32 v73, vcc, v42, v37, vcc
	v_mov_b32_e32 v29, v3
	v_or_b32_e32 v28, 0x300, v2
	v_mov_b32_e32 v43, s3
	v_add_co_u32_e32 v0, vcc, s2, v0
	v_lshlrev_b64 v[28:29], 3, v[28:29]
	v_addc_co_u32_e32 v1, vcc, v43, v1, vcc
	v_mov_b32_e32 v31, v3
	v_mov_b32_e32 v33, v3
	;; [unrolled: 1-line block ×3, first 2 shown]
	v_or_b32_e32 v30, 0x400, v2
	v_or_b32_e32 v32, 0x500, v2
	;; [unrolled: 1-line block ×3, first 2 shown]
	v_mov_b32_e32 v44, s3
	v_add_co_u32_e32 v74, vcc, s2, v28
	v_lshlrev_b64 v[38:39], 3, v[30:31]
	v_lshlrev_b64 v[40:41], 3, v[32:33]
	;; [unrolled: 1-line block ×3, first 2 shown]
	v_addc_co_u32_e32 v75, vcc, v44, v29, vcc
	global_load_dwordx4 v[28:31], v[68:69], off offset:112
	global_load_dwordx4 v[32:35], v[68:69], off offset:96
	v_mov_b32_e32 v45, s3
	v_add_co_u32_e32 v76, vcc, s2, v38
	v_addc_co_u32_e32 v77, vcc, v45, v39, vcc
	v_mov_b32_e32 v46, s3
	v_add_co_u32_e32 v78, vcc, s2, v40
	v_addc_co_u32_e32 v79, vcc, v46, v41, vcc
	global_load_dwordx4 v[36:39], v[68:69], off offset:176
	global_load_dwordx4 v[40:43], v[68:69], off offset:160
	global_load_dwordx4 v[44:47], v[68:69], off offset:144
	global_load_dwordx4 v[48:51], v[68:69], off offset:128
	global_load_dwordx4 v[52:55], v[68:69], off offset:240
	global_load_dwordx4 v[56:59], v[68:69], off offset:224
	global_load_dwordx4 v[60:63], v[68:69], off offset:208
	global_load_dwordx4 v[64:67], v[68:69], off offset:192
	v_mov_b32_e32 v80, s3
	s_waitcnt vmcnt(15)
	global_store_dwordx2 v[72:73], v[4:5], off
	global_store_dwordx2 v[72:73], v[6:7], off offset:2048
	s_waitcnt vmcnt(16)
	global_store_dwordx2 v[0:1], v[8:9], off
	global_store_dwordx2 v[74:75], v[10:11], off
	s_waitcnt vmcnt(17)
	global_store_dwordx2 v[76:77], v[12:13], off
	global_store_dwordx2 v[78:79], v[14:15], off
	v_add_co_u32_e32 v0, vcc, s2, v70
	v_addc_co_u32_e32 v1, vcc, v80, v71, vcc
	s_waitcnt vmcnt(18)
	global_store_dwordx2 v[0:1], v[16:17], off
	v_or_b32_e32 v0, 0x700, v2
	v_mov_b32_e32 v1, v3
	v_lshlrev_b64 v[0:1], 3, v[0:1]
	v_mov_b32_e32 v4, s3
	v_add_co_u32_e32 v0, vcc, s2, v0
	v_addc_co_u32_e32 v1, vcc, v4, v1, vcc
	global_store_dwordx2 v[0:1], v[18:19], off
	v_or_b32_e32 v0, 0x800, v2
	v_mov_b32_e32 v1, v3
	v_lshlrev_b64 v[0:1], 3, v[0:1]
	v_add_co_u32_e32 v0, vcc, s2, v0
	v_addc_co_u32_e32 v1, vcc, v4, v1, vcc
	s_waitcnt vmcnt(18)
	global_store_dwordx2 v[0:1], v[24:25], off
	v_or_b32_e32 v0, 0x900, v2
	v_mov_b32_e32 v1, v3
	v_lshlrev_b64 v[0:1], 3, v[0:1]
	v_add_co_u32_e32 v0, vcc, s2, v0
	v_addc_co_u32_e32 v1, vcc, v4, v1, vcc
	global_store_dwordx2 v[0:1], v[26:27], off
	v_or_b32_e32 v0, 0xa00, v2
	v_mov_b32_e32 v1, v3
	v_lshlrev_b64 v[0:1], 3, v[0:1]
	v_add_co_u32_e32 v0, vcc, s2, v0
	v_addc_co_u32_e32 v1, vcc, v4, v1, vcc
	global_store_dwordx2 v[0:1], v[20:21], off
	v_or_b32_e32 v0, 0xb00, v2
	v_mov_b32_e32 v1, v3
	v_lshlrev_b64 v[0:1], 3, v[0:1]
	v_add_co_u32_e32 v0, vcc, s2, v0
	v_addc_co_u32_e32 v1, vcc, v4, v1, vcc
	global_store_dwordx2 v[0:1], v[22:23], off
	v_or_b32_e32 v0, 0xc00, v2
	v_mov_b32_e32 v1, v3
	v_lshlrev_b64 v[0:1], 3, v[0:1]
	v_add_co_u32_e32 v0, vcc, s2, v0
	v_addc_co_u32_e32 v1, vcc, v4, v1, vcc
	s_waitcnt vmcnt(20)
	global_store_dwordx2 v[0:1], v[32:33], off
	v_or_b32_e32 v0, 0xd00, v2
	v_mov_b32_e32 v1, v3
	v_lshlrev_b64 v[0:1], 3, v[0:1]
	v_add_co_u32_e32 v0, vcc, s2, v0
	v_addc_co_u32_e32 v1, vcc, v4, v1, vcc
	global_store_dwordx2 v[0:1], v[34:35], off
	v_or_b32_e32 v0, 0xe00, v2
	v_mov_b32_e32 v1, v3
	v_lshlrev_b64 v[0:1], 3, v[0:1]
	v_add_co_u32_e32 v0, vcc, s2, v0
	v_addc_co_u32_e32 v1, vcc, v4, v1, vcc
	global_store_dwordx2 v[0:1], v[28:29], off
	v_or_b32_e32 v0, 0xf00, v2
	v_mov_b32_e32 v1, v3
	v_lshlrev_b64 v[0:1], 3, v[0:1]
	;; [unrolled: 25-line block ×3, first 2 shown]
	v_add_co_u32_e32 v0, vcc, s2, v0
	v_addc_co_u32_e32 v1, vcc, v4, v1, vcc
	global_store_dwordx2 v[0:1], v[46:47], off
	v_or_b32_e32 v0, 0x1400, v2
	v_mov_b32_e32 v1, v3
	v_lshlrev_b64 v[0:1], 3, v[0:1]
	v_add_co_u32_e32 v0, vcc, s2, v0
	v_addc_co_u32_e32 v1, vcc, v4, v1, vcc
	global_store_dwordx2 v[0:1], v[40:41], off
	v_or_b32_e32 v0, 0x1500, v2
	v_mov_b32_e32 v1, v3
	v_lshlrev_b64 v[0:1], 3, v[0:1]
	;; [unrolled: 6-line block ×5, first 2 shown]
	v_add_co_u32_e32 v0, vcc, s2, v0
	v_addc_co_u32_e32 v1, vcc, v4, v1, vcc
	s_waitcnt vmcnt(24)
	global_store_dwordx2 v[0:1], v[64:65], off
	v_or_b32_e32 v0, 0x1900, v2
	v_mov_b32_e32 v1, v3
	v_lshlrev_b64 v[0:1], 3, v[0:1]
	v_add_co_u32_e32 v0, vcc, s2, v0
	v_addc_co_u32_e32 v1, vcc, v4, v1, vcc
	global_store_dwordx2 v[0:1], v[66:67], off
	v_or_b32_e32 v0, 0x1a00, v2
	v_mov_b32_e32 v1, v3
	v_lshlrev_b64 v[0:1], 3, v[0:1]
	v_add_co_u32_e32 v0, vcc, s2, v0
	v_addc_co_u32_e32 v1, vcc, v4, v1, vcc
	;; [unrolled: 6-line block ×6, first 2 shown]
	v_or_b32_e32 v2, 0x1f00, v2
	global_store_dwordx2 v[0:1], v[52:53], off
	v_lshlrev_b64 v[0:1], 3, v[2:3]
	v_mov_b32_e32 v2, s3
	v_add_co_u32_e32 v0, vcc, s2, v0
	v_addc_co_u32_e32 v1, vcc, v2, v1, vcc
	global_store_dwordx2 v[0:1], v[54:55], off
	s_endpgm
	.section	.rodata,"a",@progbits
	.p2align	6, 0x0
	.amdhsa_kernel _Z16warp_load_kernelILj256ELj32ELj64ELN6hipcub17WarpLoadAlgorithmE0EdEvPT3_S3_
		.amdhsa_group_segment_fixed_size 0
		.amdhsa_private_segment_fixed_size 0
		.amdhsa_kernarg_size 16
		.amdhsa_user_sgpr_count 6
		.amdhsa_user_sgpr_private_segment_buffer 1
		.amdhsa_user_sgpr_dispatch_ptr 0
		.amdhsa_user_sgpr_queue_ptr 0
		.amdhsa_user_sgpr_kernarg_segment_ptr 1
		.amdhsa_user_sgpr_dispatch_id 0
		.amdhsa_user_sgpr_flat_scratch_init 0
		.amdhsa_user_sgpr_kernarg_preload_length 0
		.amdhsa_user_sgpr_kernarg_preload_offset 0
		.amdhsa_user_sgpr_private_segment_size 0
		.amdhsa_uses_dynamic_stack 0
		.amdhsa_system_sgpr_private_segment_wavefront_offset 0
		.amdhsa_system_sgpr_workgroup_id_x 1
		.amdhsa_system_sgpr_workgroup_id_y 0
		.amdhsa_system_sgpr_workgroup_id_z 0
		.amdhsa_system_sgpr_workgroup_info 0
		.amdhsa_system_vgpr_workitem_id 0
		.amdhsa_next_free_vgpr 81
		.amdhsa_next_free_sgpr 7
		.amdhsa_accum_offset 84
		.amdhsa_reserve_vcc 1
		.amdhsa_reserve_flat_scratch 0
		.amdhsa_float_round_mode_32 0
		.amdhsa_float_round_mode_16_64 0
		.amdhsa_float_denorm_mode_32 3
		.amdhsa_float_denorm_mode_16_64 3
		.amdhsa_dx10_clamp 1
		.amdhsa_ieee_mode 1
		.amdhsa_fp16_overflow 0
		.amdhsa_tg_split 0
		.amdhsa_exception_fp_ieee_invalid_op 0
		.amdhsa_exception_fp_denorm_src 0
		.amdhsa_exception_fp_ieee_div_zero 0
		.amdhsa_exception_fp_ieee_overflow 0
		.amdhsa_exception_fp_ieee_underflow 0
		.amdhsa_exception_fp_ieee_inexact 0
		.amdhsa_exception_int_div_zero 0
	.end_amdhsa_kernel
	.section	.text._Z16warp_load_kernelILj256ELj32ELj64ELN6hipcub17WarpLoadAlgorithmE0EdEvPT3_S3_,"axG",@progbits,_Z16warp_load_kernelILj256ELj32ELj64ELN6hipcub17WarpLoadAlgorithmE0EdEvPT3_S3_,comdat
.Lfunc_end67:
	.size	_Z16warp_load_kernelILj256ELj32ELj64ELN6hipcub17WarpLoadAlgorithmE0EdEvPT3_S3_, .Lfunc_end67-_Z16warp_load_kernelILj256ELj32ELj64ELN6hipcub17WarpLoadAlgorithmE0EdEvPT3_S3_
                                        ; -- End function
	.section	.AMDGPU.csdata,"",@progbits
; Kernel info:
; codeLenInByte = 1392
; NumSgprs: 11
; NumVgprs: 81
; NumAgprs: 0
; TotalNumVgprs: 81
; ScratchSize: 0
; MemoryBound: 1
; FloatMode: 240
; IeeeMode: 1
; LDSByteSize: 0 bytes/workgroup (compile time only)
; SGPRBlocks: 1
; VGPRBlocks: 10
; NumSGPRsForWavesPerEU: 11
; NumVGPRsForWavesPerEU: 81
; AccumOffset: 84
; Occupancy: 5
; WaveLimiterHint : 1
; COMPUTE_PGM_RSRC2:SCRATCH_EN: 0
; COMPUTE_PGM_RSRC2:USER_SGPR: 6
; COMPUTE_PGM_RSRC2:TRAP_HANDLER: 0
; COMPUTE_PGM_RSRC2:TGID_X_EN: 1
; COMPUTE_PGM_RSRC2:TGID_Y_EN: 0
; COMPUTE_PGM_RSRC2:TGID_Z_EN: 0
; COMPUTE_PGM_RSRC2:TIDIG_COMP_CNT: 0
; COMPUTE_PGM_RSRC3_GFX90A:ACCUM_OFFSET: 20
; COMPUTE_PGM_RSRC3_GFX90A:TG_SPLIT: 0
	.section	.text._Z16warp_load_kernelILj256ELj32ELj64ELN6hipcub17WarpLoadAlgorithmE1EdEvPT3_S3_,"axG",@progbits,_Z16warp_load_kernelILj256ELj32ELj64ELN6hipcub17WarpLoadAlgorithmE1EdEvPT3_S3_,comdat
	.protected	_Z16warp_load_kernelILj256ELj32ELj64ELN6hipcub17WarpLoadAlgorithmE1EdEvPT3_S3_ ; -- Begin function _Z16warp_load_kernelILj256ELj32ELj64ELN6hipcub17WarpLoadAlgorithmE1EdEvPT3_S3_
	.globl	_Z16warp_load_kernelILj256ELj32ELj64ELN6hipcub17WarpLoadAlgorithmE1EdEvPT3_S3_
	.p2align	8
	.type	_Z16warp_load_kernelILj256ELj32ELj64ELN6hipcub17WarpLoadAlgorithmE1EdEvPT3_S3_,@function
_Z16warp_load_kernelILj256ELj32ELj64ELN6hipcub17WarpLoadAlgorithmE1EdEvPT3_S3_: ; @_Z16warp_load_kernelILj256ELj32ELj64ELN6hipcub17WarpLoadAlgorithmE1EdEvPT3_S3_
; %bb.0:
	s_load_dwordx4 s[0:3], s[4:5], 0x0
	v_lshlrev_b32_e32 v2, 5, v0
	s_lshl_b32 s4, s6, 13
	v_and_b32_e32 v2, 0x1800, v2
	v_or_b32_e32 v2, s4, v2
	v_mov_b32_e32 v3, 0
	v_mbcnt_lo_u32_b32 v1, -1, 0
	v_lshlrev_b64 v[4:5], 3, v[2:3]
	v_mbcnt_hi_u32_b32 v1, -1, v1
	s_waitcnt lgkmcnt(0)
	v_mov_b32_e32 v2, s1
	v_add_co_u32_e32 v4, vcc, s0, v4
	v_addc_co_u32_e32 v2, vcc, v2, v5, vcc
	v_lshlrev_b32_e32 v5, 3, v1
	v_add_co_u32_e32 v4, vcc, v4, v5
	v_lshlrev_b32_e32 v1, 8, v1
	v_addc_co_u32_e32 v2, vcc, 0, v2, vcc
	v_and_b32_e32 v1, 0x4000, v1
	v_add_co_u32_e32 v4, vcc, v4, v1
	v_addc_co_u32_e32 v5, vcc, 0, v2, vcc
	global_load_dwordx2 v[20:21], v[4:5], off
	global_load_dwordx2 v[22:23], v[4:5], off offset:512
	global_load_dwordx2 v[24:25], v[4:5], off offset:1024
	global_load_dwordx2 v[26:27], v[4:5], off offset:1536
	global_load_dwordx2 v[28:29], v[4:5], off offset:2048
	global_load_dwordx2 v[30:31], v[4:5], off offset:2560
	global_load_dwordx2 v[34:35], v[4:5], off offset:3072
	global_load_dwordx2 v[36:37], v[4:5], off offset:3584
	v_or_b32_e32 v2, s4, v0
	v_lshlrev_b64 v[0:1], 3, v[2:3]
	v_mov_b32_e32 v6, s3
	v_add_co_u32_e32 v32, vcc, s2, v0
	s_movk_i32 s0, 0x1000
	v_addc_co_u32_e32 v33, vcc, v6, v1, vcc
	v_add_co_u32_e32 v38, vcc, s0, v4
	s_movk_i32 s1, 0x2000
	v_addc_co_u32_e32 v39, vcc, 0, v5, vcc
	;; [unrolled: 3-line block ×3, first 2 shown]
	v_add_co_u32_e32 v40, vcc, s5, v4
	v_addc_co_u32_e32 v41, vcc, 0, v5, vcc
	global_load_dwordx2 v[42:43], v[0:1], off offset:-4096
	global_load_dwordx2 v[44:45], v[38:39], off offset:512
	global_load_dwordx2 v[46:47], v[38:39], off offset:1024
	;; [unrolled: 1-line block ×4, first 2 shown]
	global_load_dwordx2 v[52:53], v[0:1], off
	global_load_dwordx2 v[54:55], v[0:1], off offset:512
	global_load_dwordx2 v[56:57], v[0:1], off offset:1024
	;; [unrolled: 1-line block ×9, first 2 shown]
                                        ; kill: killed $vgpr0 killed $vgpr1
	global_load_dwordx2 v[70:71], v[38:39], off offset:3584
	global_load_dwordx2 v[16:17], v[40:41], off
	global_load_dwordx2 v[14:15], v[40:41], off offset:512
	global_load_dwordx2 v[12:13], v[40:41], off offset:1024
	;; [unrolled: 1-line block ×7, first 2 shown]
	s_waitcnt vmcnt(31)
	global_store_dwordx2 v[32:33], v[20:21], off
	v_mov_b32_e32 v21, v3
	v_or_b32_e32 v20, 0x200, v2
	v_lshlrev_b64 v[20:21], 3, v[20:21]
	s_waitcnt vmcnt(31)
	global_store_dwordx2 v[32:33], v[22:23], off offset:2048
	v_mov_b32_e32 v22, s3
	v_add_co_u32_e32 v20, vcc, s2, v20
	v_addc_co_u32_e32 v21, vcc, v22, v21, vcc
	s_waitcnt vmcnt(31)
	global_store_dwordx2 v[20:21], v[24:25], off
	v_or_b32_e32 v20, 0x300, v2
	v_mov_b32_e32 v21, v3
	v_lshlrev_b64 v[20:21], 3, v[20:21]
	v_add_co_u32_e32 v20, vcc, s2, v20
	v_addc_co_u32_e32 v21, vcc, v22, v21, vcc
	s_waitcnt vmcnt(31)
	global_store_dwordx2 v[20:21], v[26:27], off
	v_or_b32_e32 v20, 0x400, v2
	v_mov_b32_e32 v21, v3
	v_lshlrev_b64 v[20:21], 3, v[20:21]
	;; [unrolled: 7-line block ×14, first 2 shown]
	v_add_co_u32_e32 v20, vcc, s2, v20
	v_addc_co_u32_e32 v21, vcc, v22, v21, vcc
	global_store_dwordx2 v[20:21], v[52:53], off
	v_or_b32_e32 v20, 0x1100, v2
	v_mov_b32_e32 v21, v3
	v_lshlrev_b64 v[20:21], 3, v[20:21]
	v_add_co_u32_e32 v20, vcc, s2, v20
	v_addc_co_u32_e32 v21, vcc, v22, v21, vcc
	global_store_dwordx2 v[20:21], v[54:55], off
	v_or_b32_e32 v20, 0x1200, v2
	v_mov_b32_e32 v21, v3
	v_lshlrev_b64 v[20:21], 3, v[20:21]
	;; [unrolled: 6-line block ×8, first 2 shown]
	v_mov_b32_e32 v20, s3
	v_add_co_u32_e32 v18, vcc, s2, v18
	v_addc_co_u32_e32 v19, vcc, v20, v19, vcc
	s_waitcnt vmcnt(31)
	global_store_dwordx2 v[18:19], v[16:17], off
	v_or_b32_e32 v16, 0x1900, v2
	v_mov_b32_e32 v17, v3
	v_lshlrev_b64 v[16:17], 3, v[16:17]
	v_mov_b32_e32 v18, s3
	v_add_co_u32_e32 v16, vcc, s2, v16
	v_addc_co_u32_e32 v17, vcc, v18, v17, vcc
	s_waitcnt vmcnt(31)
	global_store_dwordx2 v[16:17], v[14:15], off
	v_or_b32_e32 v14, 0x1a00, v2
	v_mov_b32_e32 v15, v3
	v_lshlrev_b64 v[14:15], 3, v[14:15]
	;; [unrolled: 8-line block ×6, first 2 shown]
	v_mov_b32_e32 v8, s3
	v_add_co_u32_e32 v6, vcc, s2, v6
	v_or_b32_e32 v2, 0x1f00, v2
	v_addc_co_u32_e32 v7, vcc, v8, v7, vcc
	v_lshlrev_b64 v[2:3], 3, v[2:3]
	s_waitcnt vmcnt(31)
	global_store_dwordx2 v[6:7], v[4:5], off
	v_mov_b32_e32 v4, s3
	v_add_co_u32_e32 v2, vcc, s2, v2
	v_addc_co_u32_e32 v3, vcc, v4, v3, vcc
	s_waitcnt vmcnt(31)
	global_store_dwordx2 v[2:3], v[0:1], off
	s_endpgm
	.section	.rodata,"a",@progbits
	.p2align	6, 0x0
	.amdhsa_kernel _Z16warp_load_kernelILj256ELj32ELj64ELN6hipcub17WarpLoadAlgorithmE1EdEvPT3_S3_
		.amdhsa_group_segment_fixed_size 0
		.amdhsa_private_segment_fixed_size 0
		.amdhsa_kernarg_size 16
		.amdhsa_user_sgpr_count 6
		.amdhsa_user_sgpr_private_segment_buffer 1
		.amdhsa_user_sgpr_dispatch_ptr 0
		.amdhsa_user_sgpr_queue_ptr 0
		.amdhsa_user_sgpr_kernarg_segment_ptr 1
		.amdhsa_user_sgpr_dispatch_id 0
		.amdhsa_user_sgpr_flat_scratch_init 0
		.amdhsa_user_sgpr_kernarg_preload_length 0
		.amdhsa_user_sgpr_kernarg_preload_offset 0
		.amdhsa_user_sgpr_private_segment_size 0
		.amdhsa_uses_dynamic_stack 0
		.amdhsa_system_sgpr_private_segment_wavefront_offset 0
		.amdhsa_system_sgpr_workgroup_id_x 1
		.amdhsa_system_sgpr_workgroup_id_y 0
		.amdhsa_system_sgpr_workgroup_id_z 0
		.amdhsa_system_sgpr_workgroup_info 0
		.amdhsa_system_vgpr_workitem_id 0
		.amdhsa_next_free_vgpr 72
		.amdhsa_next_free_sgpr 7
		.amdhsa_accum_offset 72
		.amdhsa_reserve_vcc 1
		.amdhsa_reserve_flat_scratch 0
		.amdhsa_float_round_mode_32 0
		.amdhsa_float_round_mode_16_64 0
		.amdhsa_float_denorm_mode_32 3
		.amdhsa_float_denorm_mode_16_64 3
		.amdhsa_dx10_clamp 1
		.amdhsa_ieee_mode 1
		.amdhsa_fp16_overflow 0
		.amdhsa_tg_split 0
		.amdhsa_exception_fp_ieee_invalid_op 0
		.amdhsa_exception_fp_denorm_src 0
		.amdhsa_exception_fp_ieee_div_zero 0
		.amdhsa_exception_fp_ieee_overflow 0
		.amdhsa_exception_fp_ieee_underflow 0
		.amdhsa_exception_fp_ieee_inexact 0
		.amdhsa_exception_int_div_zero 0
	.end_amdhsa_kernel
	.section	.text._Z16warp_load_kernelILj256ELj32ELj64ELN6hipcub17WarpLoadAlgorithmE1EdEvPT3_S3_,"axG",@progbits,_Z16warp_load_kernelILj256ELj32ELj64ELN6hipcub17WarpLoadAlgorithmE1EdEvPT3_S3_,comdat
.Lfunc_end68:
	.size	_Z16warp_load_kernelILj256ELj32ELj64ELN6hipcub17WarpLoadAlgorithmE1EdEvPT3_S3_, .Lfunc_end68-_Z16warp_load_kernelILj256ELj32ELj64ELN6hipcub17WarpLoadAlgorithmE1EdEvPT3_S3_
                                        ; -- End function
	.section	.AMDGPU.csdata,"",@progbits
; Kernel info:
; codeLenInByte = 1648
; NumSgprs: 11
; NumVgprs: 72
; NumAgprs: 0
; TotalNumVgprs: 72
; ScratchSize: 0
; MemoryBound: 1
; FloatMode: 240
; IeeeMode: 1
; LDSByteSize: 0 bytes/workgroup (compile time only)
; SGPRBlocks: 1
; VGPRBlocks: 8
; NumSGPRsForWavesPerEU: 11
; NumVGPRsForWavesPerEU: 72
; AccumOffset: 72
; Occupancy: 7
; WaveLimiterHint : 1
; COMPUTE_PGM_RSRC2:SCRATCH_EN: 0
; COMPUTE_PGM_RSRC2:USER_SGPR: 6
; COMPUTE_PGM_RSRC2:TRAP_HANDLER: 0
; COMPUTE_PGM_RSRC2:TGID_X_EN: 1
; COMPUTE_PGM_RSRC2:TGID_Y_EN: 0
; COMPUTE_PGM_RSRC2:TGID_Z_EN: 0
; COMPUTE_PGM_RSRC2:TIDIG_COMP_CNT: 0
; COMPUTE_PGM_RSRC3_GFX90A:ACCUM_OFFSET: 17
; COMPUTE_PGM_RSRC3_GFX90A:TG_SPLIT: 0
	.section	.text._Z16warp_load_kernelILj256ELj32ELj64ELN6hipcub17WarpLoadAlgorithmE2EdEvPT3_S3_,"axG",@progbits,_Z16warp_load_kernelILj256ELj32ELj64ELN6hipcub17WarpLoadAlgorithmE2EdEvPT3_S3_,comdat
	.protected	_Z16warp_load_kernelILj256ELj32ELj64ELN6hipcub17WarpLoadAlgorithmE2EdEvPT3_S3_ ; -- Begin function _Z16warp_load_kernelILj256ELj32ELj64ELN6hipcub17WarpLoadAlgorithmE2EdEvPT3_S3_
	.globl	_Z16warp_load_kernelILj256ELj32ELj64ELN6hipcub17WarpLoadAlgorithmE2EdEvPT3_S3_
	.p2align	8
	.type	_Z16warp_load_kernelILj256ELj32ELj64ELN6hipcub17WarpLoadAlgorithmE2EdEvPT3_S3_,@function
_Z16warp_load_kernelILj256ELj32ELj64ELN6hipcub17WarpLoadAlgorithmE2EdEvPT3_S3_: ; @_Z16warp_load_kernelILj256ELj32ELj64ELN6hipcub17WarpLoadAlgorithmE2EdEvPT3_S3_
; %bb.0:
	s_load_dwordx4 s[0:3], s[4:5], 0x0
	v_lshlrev_b32_e32 v2, 5, v0
	s_lshl_b32 s4, s6, 13
	v_and_b32_e32 v2, 0x1800, v2
	v_or_b32_e32 v2, s4, v2
	v_mov_b32_e32 v3, 0
	v_mbcnt_lo_u32_b32 v1, -1, 0
	v_lshlrev_b64 v[4:5], 3, v[2:3]
	v_mbcnt_hi_u32_b32 v1, -1, v1
	s_waitcnt lgkmcnt(0)
	v_mov_b32_e32 v2, s1
	v_add_co_u32_e32 v4, vcc, s0, v4
	v_addc_co_u32_e32 v2, vcc, v2, v5, vcc
	v_lshlrev_b32_e32 v1, 8, v1
	v_add_co_u32_e32 v68, vcc, v4, v1
	v_addc_co_u32_e32 v69, vcc, 0, v2, vcc
	global_load_dwordx4 v[4:7], v[68:69], off
	global_load_dwordx4 v[8:11], v[68:69], off offset:16
	global_load_dwordx4 v[12:15], v[68:69], off offset:32
	;; [unrolled: 1-line block ×5, first 2 shown]
	v_or_b32_e32 v2, s4, v0
	v_lshlrev_b64 v[36:37], 3, v[2:3]
	v_mov_b32_e32 v1, v3
	v_or_b32_e32 v0, 0x200, v2
	v_mov_b32_e32 v42, s3
	v_add_co_u32_e32 v72, vcc, s2, v36
	v_lshlrev_b64 v[0:1], 3, v[0:1]
	v_addc_co_u32_e32 v73, vcc, v42, v37, vcc
	v_mov_b32_e32 v29, v3
	v_or_b32_e32 v28, 0x300, v2
	v_mov_b32_e32 v43, s3
	v_add_co_u32_e32 v0, vcc, s2, v0
	v_lshlrev_b64 v[28:29], 3, v[28:29]
	v_addc_co_u32_e32 v1, vcc, v43, v1, vcc
	v_mov_b32_e32 v31, v3
	v_mov_b32_e32 v33, v3
	v_mov_b32_e32 v35, v3
	v_or_b32_e32 v30, 0x400, v2
	v_or_b32_e32 v32, 0x500, v2
	;; [unrolled: 1-line block ×3, first 2 shown]
	v_mov_b32_e32 v44, s3
	v_add_co_u32_e32 v74, vcc, s2, v28
	v_lshlrev_b64 v[38:39], 3, v[30:31]
	v_lshlrev_b64 v[40:41], 3, v[32:33]
	;; [unrolled: 1-line block ×3, first 2 shown]
	v_addc_co_u32_e32 v75, vcc, v44, v29, vcc
	global_load_dwordx4 v[28:31], v[68:69], off offset:112
	global_load_dwordx4 v[32:35], v[68:69], off offset:96
	v_mov_b32_e32 v45, s3
	v_add_co_u32_e32 v76, vcc, s2, v38
	v_addc_co_u32_e32 v77, vcc, v45, v39, vcc
	v_mov_b32_e32 v46, s3
	v_add_co_u32_e32 v78, vcc, s2, v40
	v_addc_co_u32_e32 v79, vcc, v46, v41, vcc
	global_load_dwordx4 v[36:39], v[68:69], off offset:176
	global_load_dwordx4 v[40:43], v[68:69], off offset:160
	;; [unrolled: 1-line block ×8, first 2 shown]
	v_mov_b32_e32 v80, s3
	s_waitcnt vmcnt(15)
	global_store_dwordx2 v[72:73], v[4:5], off
	global_store_dwordx2 v[72:73], v[6:7], off offset:2048
	s_waitcnt vmcnt(16)
	global_store_dwordx2 v[0:1], v[8:9], off
	global_store_dwordx2 v[74:75], v[10:11], off
	s_waitcnt vmcnt(17)
	global_store_dwordx2 v[76:77], v[12:13], off
	global_store_dwordx2 v[78:79], v[14:15], off
	v_add_co_u32_e32 v0, vcc, s2, v70
	v_addc_co_u32_e32 v1, vcc, v80, v71, vcc
	s_waitcnt vmcnt(18)
	global_store_dwordx2 v[0:1], v[16:17], off
	v_or_b32_e32 v0, 0x700, v2
	v_mov_b32_e32 v1, v3
	v_lshlrev_b64 v[0:1], 3, v[0:1]
	v_mov_b32_e32 v4, s3
	v_add_co_u32_e32 v0, vcc, s2, v0
	v_addc_co_u32_e32 v1, vcc, v4, v1, vcc
	global_store_dwordx2 v[0:1], v[18:19], off
	v_or_b32_e32 v0, 0x800, v2
	v_mov_b32_e32 v1, v3
	v_lshlrev_b64 v[0:1], 3, v[0:1]
	v_add_co_u32_e32 v0, vcc, s2, v0
	v_addc_co_u32_e32 v1, vcc, v4, v1, vcc
	s_waitcnt vmcnt(18)
	global_store_dwordx2 v[0:1], v[24:25], off
	v_or_b32_e32 v0, 0x900, v2
	v_mov_b32_e32 v1, v3
	v_lshlrev_b64 v[0:1], 3, v[0:1]
	v_add_co_u32_e32 v0, vcc, s2, v0
	v_addc_co_u32_e32 v1, vcc, v4, v1, vcc
	global_store_dwordx2 v[0:1], v[26:27], off
	v_or_b32_e32 v0, 0xa00, v2
	v_mov_b32_e32 v1, v3
	v_lshlrev_b64 v[0:1], 3, v[0:1]
	v_add_co_u32_e32 v0, vcc, s2, v0
	v_addc_co_u32_e32 v1, vcc, v4, v1, vcc
	global_store_dwordx2 v[0:1], v[20:21], off
	v_or_b32_e32 v0, 0xb00, v2
	v_mov_b32_e32 v1, v3
	v_lshlrev_b64 v[0:1], 3, v[0:1]
	v_add_co_u32_e32 v0, vcc, s2, v0
	v_addc_co_u32_e32 v1, vcc, v4, v1, vcc
	global_store_dwordx2 v[0:1], v[22:23], off
	v_or_b32_e32 v0, 0xc00, v2
	v_mov_b32_e32 v1, v3
	v_lshlrev_b64 v[0:1], 3, v[0:1]
	v_add_co_u32_e32 v0, vcc, s2, v0
	v_addc_co_u32_e32 v1, vcc, v4, v1, vcc
	s_waitcnt vmcnt(20)
	global_store_dwordx2 v[0:1], v[32:33], off
	v_or_b32_e32 v0, 0xd00, v2
	v_mov_b32_e32 v1, v3
	v_lshlrev_b64 v[0:1], 3, v[0:1]
	v_add_co_u32_e32 v0, vcc, s2, v0
	v_addc_co_u32_e32 v1, vcc, v4, v1, vcc
	global_store_dwordx2 v[0:1], v[34:35], off
	v_or_b32_e32 v0, 0xe00, v2
	v_mov_b32_e32 v1, v3
	v_lshlrev_b64 v[0:1], 3, v[0:1]
	v_add_co_u32_e32 v0, vcc, s2, v0
	v_addc_co_u32_e32 v1, vcc, v4, v1, vcc
	global_store_dwordx2 v[0:1], v[28:29], off
	v_or_b32_e32 v0, 0xf00, v2
	v_mov_b32_e32 v1, v3
	v_lshlrev_b64 v[0:1], 3, v[0:1]
	v_add_co_u32_e32 v0, vcc, s2, v0
	v_addc_co_u32_e32 v1, vcc, v4, v1, vcc
	global_store_dwordx2 v[0:1], v[30:31], off
	v_or_b32_e32 v0, 0x1000, v2
	v_mov_b32_e32 v1, v3
	v_lshlrev_b64 v[0:1], 3, v[0:1]
	v_add_co_u32_e32 v0, vcc, s2, v0
	v_addc_co_u32_e32 v1, vcc, v4, v1, vcc
	s_waitcnt vmcnt(20)
	global_store_dwordx2 v[0:1], v[48:49], off
	v_or_b32_e32 v0, 0x1100, v2
	v_mov_b32_e32 v1, v3
	v_lshlrev_b64 v[0:1], 3, v[0:1]
	v_add_co_u32_e32 v0, vcc, s2, v0
	v_addc_co_u32_e32 v1, vcc, v4, v1, vcc
	global_store_dwordx2 v[0:1], v[50:51], off
	v_or_b32_e32 v0, 0x1200, v2
	v_mov_b32_e32 v1, v3
	v_lshlrev_b64 v[0:1], 3, v[0:1]
	v_add_co_u32_e32 v0, vcc, s2, v0
	v_addc_co_u32_e32 v1, vcc, v4, v1, vcc
	global_store_dwordx2 v[0:1], v[44:45], off
	v_or_b32_e32 v0, 0x1300, v2
	v_mov_b32_e32 v1, v3
	v_lshlrev_b64 v[0:1], 3, v[0:1]
	v_add_co_u32_e32 v0, vcc, s2, v0
	v_addc_co_u32_e32 v1, vcc, v4, v1, vcc
	global_store_dwordx2 v[0:1], v[46:47], off
	v_or_b32_e32 v0, 0x1400, v2
	v_mov_b32_e32 v1, v3
	v_lshlrev_b64 v[0:1], 3, v[0:1]
	v_add_co_u32_e32 v0, vcc, s2, v0
	v_addc_co_u32_e32 v1, vcc, v4, v1, vcc
	global_store_dwordx2 v[0:1], v[40:41], off
	v_or_b32_e32 v0, 0x1500, v2
	v_mov_b32_e32 v1, v3
	v_lshlrev_b64 v[0:1], 3, v[0:1]
	;; [unrolled: 6-line block ×5, first 2 shown]
	v_add_co_u32_e32 v0, vcc, s2, v0
	v_addc_co_u32_e32 v1, vcc, v4, v1, vcc
	s_waitcnt vmcnt(24)
	global_store_dwordx2 v[0:1], v[64:65], off
	v_or_b32_e32 v0, 0x1900, v2
	v_mov_b32_e32 v1, v3
	v_lshlrev_b64 v[0:1], 3, v[0:1]
	v_add_co_u32_e32 v0, vcc, s2, v0
	v_addc_co_u32_e32 v1, vcc, v4, v1, vcc
	global_store_dwordx2 v[0:1], v[66:67], off
	v_or_b32_e32 v0, 0x1a00, v2
	v_mov_b32_e32 v1, v3
	v_lshlrev_b64 v[0:1], 3, v[0:1]
	v_add_co_u32_e32 v0, vcc, s2, v0
	v_addc_co_u32_e32 v1, vcc, v4, v1, vcc
	;; [unrolled: 6-line block ×6, first 2 shown]
	v_or_b32_e32 v2, 0x1f00, v2
	global_store_dwordx2 v[0:1], v[52:53], off
	v_lshlrev_b64 v[0:1], 3, v[2:3]
	v_mov_b32_e32 v2, s3
	v_add_co_u32_e32 v0, vcc, s2, v0
	v_addc_co_u32_e32 v1, vcc, v2, v1, vcc
	global_store_dwordx2 v[0:1], v[54:55], off
	s_endpgm
	.section	.rodata,"a",@progbits
	.p2align	6, 0x0
	.amdhsa_kernel _Z16warp_load_kernelILj256ELj32ELj64ELN6hipcub17WarpLoadAlgorithmE2EdEvPT3_S3_
		.amdhsa_group_segment_fixed_size 0
		.amdhsa_private_segment_fixed_size 0
		.amdhsa_kernarg_size 16
		.amdhsa_user_sgpr_count 6
		.amdhsa_user_sgpr_private_segment_buffer 1
		.amdhsa_user_sgpr_dispatch_ptr 0
		.amdhsa_user_sgpr_queue_ptr 0
		.amdhsa_user_sgpr_kernarg_segment_ptr 1
		.amdhsa_user_sgpr_dispatch_id 0
		.amdhsa_user_sgpr_flat_scratch_init 0
		.amdhsa_user_sgpr_kernarg_preload_length 0
		.amdhsa_user_sgpr_kernarg_preload_offset 0
		.amdhsa_user_sgpr_private_segment_size 0
		.amdhsa_uses_dynamic_stack 0
		.amdhsa_system_sgpr_private_segment_wavefront_offset 0
		.amdhsa_system_sgpr_workgroup_id_x 1
		.amdhsa_system_sgpr_workgroup_id_y 0
		.amdhsa_system_sgpr_workgroup_id_z 0
		.amdhsa_system_sgpr_workgroup_info 0
		.amdhsa_system_vgpr_workitem_id 0
		.amdhsa_next_free_vgpr 81
		.amdhsa_next_free_sgpr 7
		.amdhsa_accum_offset 84
		.amdhsa_reserve_vcc 1
		.amdhsa_reserve_flat_scratch 0
		.amdhsa_float_round_mode_32 0
		.amdhsa_float_round_mode_16_64 0
		.amdhsa_float_denorm_mode_32 3
		.amdhsa_float_denorm_mode_16_64 3
		.amdhsa_dx10_clamp 1
		.amdhsa_ieee_mode 1
		.amdhsa_fp16_overflow 0
		.amdhsa_tg_split 0
		.amdhsa_exception_fp_ieee_invalid_op 0
		.amdhsa_exception_fp_denorm_src 0
		.amdhsa_exception_fp_ieee_div_zero 0
		.amdhsa_exception_fp_ieee_overflow 0
		.amdhsa_exception_fp_ieee_underflow 0
		.amdhsa_exception_fp_ieee_inexact 0
		.amdhsa_exception_int_div_zero 0
	.end_amdhsa_kernel
	.section	.text._Z16warp_load_kernelILj256ELj32ELj64ELN6hipcub17WarpLoadAlgorithmE2EdEvPT3_S3_,"axG",@progbits,_Z16warp_load_kernelILj256ELj32ELj64ELN6hipcub17WarpLoadAlgorithmE2EdEvPT3_S3_,comdat
.Lfunc_end69:
	.size	_Z16warp_load_kernelILj256ELj32ELj64ELN6hipcub17WarpLoadAlgorithmE2EdEvPT3_S3_, .Lfunc_end69-_Z16warp_load_kernelILj256ELj32ELj64ELN6hipcub17WarpLoadAlgorithmE2EdEvPT3_S3_
                                        ; -- End function
	.section	.AMDGPU.csdata,"",@progbits
; Kernel info:
; codeLenInByte = 1392
; NumSgprs: 11
; NumVgprs: 81
; NumAgprs: 0
; TotalNumVgprs: 81
; ScratchSize: 0
; MemoryBound: 1
; FloatMode: 240
; IeeeMode: 1
; LDSByteSize: 0 bytes/workgroup (compile time only)
; SGPRBlocks: 1
; VGPRBlocks: 10
; NumSGPRsForWavesPerEU: 11
; NumVGPRsForWavesPerEU: 81
; AccumOffset: 84
; Occupancy: 5
; WaveLimiterHint : 1
; COMPUTE_PGM_RSRC2:SCRATCH_EN: 0
; COMPUTE_PGM_RSRC2:USER_SGPR: 6
; COMPUTE_PGM_RSRC2:TRAP_HANDLER: 0
; COMPUTE_PGM_RSRC2:TGID_X_EN: 1
; COMPUTE_PGM_RSRC2:TGID_Y_EN: 0
; COMPUTE_PGM_RSRC2:TGID_Z_EN: 0
; COMPUTE_PGM_RSRC2:TIDIG_COMP_CNT: 0
; COMPUTE_PGM_RSRC3_GFX90A:ACCUM_OFFSET: 20
; COMPUTE_PGM_RSRC3_GFX90A:TG_SPLIT: 0
	.section	.text._Z16warp_load_kernelILj256ELj64ELj64ELN6hipcub17WarpLoadAlgorithmE0EdEvPT3_S3_,"axG",@progbits,_Z16warp_load_kernelILj256ELj64ELj64ELN6hipcub17WarpLoadAlgorithmE0EdEvPT3_S3_,comdat
	.protected	_Z16warp_load_kernelILj256ELj64ELj64ELN6hipcub17WarpLoadAlgorithmE0EdEvPT3_S3_ ; -- Begin function _Z16warp_load_kernelILj256ELj64ELj64ELN6hipcub17WarpLoadAlgorithmE0EdEvPT3_S3_
	.globl	_Z16warp_load_kernelILj256ELj64ELj64ELN6hipcub17WarpLoadAlgorithmE0EdEvPT3_S3_
	.p2align	8
	.type	_Z16warp_load_kernelILj256ELj64ELj64ELN6hipcub17WarpLoadAlgorithmE0EdEvPT3_S3_,@function
_Z16warp_load_kernelILj256ELj64ELj64ELN6hipcub17WarpLoadAlgorithmE0EdEvPT3_S3_: ; @_Z16warp_load_kernelILj256ELj64ELj64ELN6hipcub17WarpLoadAlgorithmE0EdEvPT3_S3_
; %bb.0:
	s_load_dwordx4 s[0:3], s[4:5], 0x0
	v_lshlrev_b32_e32 v2, 6, v0
	s_lshl_b32 s4, s6, 14
	v_and_b32_e32 v2, 0x3000, v2
	v_or_b32_e32 v28, s4, v2
	v_mov_b32_e32 v29, 0
	v_mbcnt_lo_u32_b32 v1, -1, 0
	v_lshlrev_b64 v[2:3], 3, v[28:29]
	v_mbcnt_hi_u32_b32 v1, -1, v1
	s_waitcnt lgkmcnt(0)
	v_mov_b32_e32 v4, s1
	v_add_co_u32_e32 v2, vcc, s0, v2
	v_addc_co_u32_e32 v3, vcc, v4, v3, vcc
	v_lshlrev_b32_e32 v1, 9, v1
	v_add_co_u32_e32 v12, vcc, v2, v1
	v_addc_co_u32_e32 v13, vcc, 0, v3, vcc
	global_load_dwordx4 v[30:33], v[12:13], off
	global_load_dwordx4 v[34:37], v[12:13], off offset:16
	global_load_dwordx4 v[38:41], v[12:13], off offset:32
	;; [unrolled: 1-line block ×5, first 2 shown]
	v_or_b32_e32 v28, s4, v0
	v_lshlrev_b64 v[6:7], 3, v[28:29]
	v_mov_b32_e32 v1, v29
	v_or_b32_e32 v0, 0x200, v28
	v_mov_b32_e32 v8, s3
	v_add_co_u32_e32 v130, vcc, s2, v6
	v_lshlrev_b64 v[0:1], 3, v[0:1]
	v_addc_co_u32_e32 v131, vcc, v8, v7, vcc
	v_mov_b32_e32 v3, v29
	v_or_b32_e32 v2, 0x300, v28
	v_mov_b32_e32 v9, s3
	v_add_co_u32_e32 v132, vcc, s2, v0
	v_lshlrev_b64 v[2:3], 3, v[2:3]
	v_addc_co_u32_e32 v133, vcc, v9, v1, vcc
	;; [unrolled: 6-line block ×3, first 2 shown]
	v_mov_b32_e32 v11, s3
	v_add_co_u32_e32 v136, vcc, s2, v4
	v_addc_co_u32_e32 v137, vcc, v11, v5, vcc
	global_load_dwordx4 v[54:57], v[12:13], off offset:112
	global_load_dwordx4 v[58:61], v[12:13], off offset:96
	;; [unrolled: 1-line block ×25, first 2 shown]
	s_nop 0
	global_load_dwordx4 v[12:15], v[12:13], off offset:448
	s_waitcnt vmcnt(31)
	global_store_dwordx2 v[130:131], v[30:31], off
	global_store_dwordx2 v[130:131], v[32:33], off offset:2048
	s_waitcnt vmcnt(32)
	global_store_dwordx2 v[132:133], v[34:35], off
	global_store_dwordx2 v[134:135], v[36:37], off
	s_waitcnt vmcnt(33)
	global_store_dwordx2 v[136:137], v[38:39], off
	v_or_b32_e32 v30, 0x500, v28
	v_mov_b32_e32 v31, v29
	v_lshlrev_b64 v[30:31], 3, v[30:31]
	v_mov_b32_e32 v32, s3
	v_add_co_u32_e32 v30, vcc, s2, v30
	v_addc_co_u32_e32 v31, vcc, v32, v31, vcc
	global_store_dwordx2 v[30:31], v[40:41], off
	v_or_b32_e32 v30, 0x600, v28
	v_mov_b32_e32 v31, v29
	v_lshlrev_b64 v[30:31], 3, v[30:31]
	v_add_co_u32_e32 v30, vcc, s2, v30
	v_addc_co_u32_e32 v31, vcc, v32, v31, vcc
	s_waitcnt vmcnt(34)
	global_store_dwordx2 v[30:31], v[42:43], off
	v_or_b32_e32 v30, 0x700, v28
	v_mov_b32_e32 v31, v29
	v_lshlrev_b64 v[30:31], 3, v[30:31]
	v_add_co_u32_e32 v30, vcc, s2, v30
	v_addc_co_u32_e32 v31, vcc, v32, v31, vcc
	global_store_dwordx2 v[30:31], v[44:45], off
	v_or_b32_e32 v30, 0x800, v28
	v_mov_b32_e32 v31, v29
	v_lshlrev_b64 v[30:31], 3, v[30:31]
	v_add_co_u32_e32 v30, vcc, s2, v30
	v_addc_co_u32_e32 v31, vcc, v32, v31, vcc
	s_waitcnt vmcnt(34)
	global_store_dwordx2 v[30:31], v[50:51], off
	v_or_b32_e32 v30, 0x900, v28
	v_mov_b32_e32 v31, v29
	v_lshlrev_b64 v[30:31], 3, v[30:31]
	v_add_co_u32_e32 v30, vcc, s2, v30
	v_addc_co_u32_e32 v31, vcc, v32, v31, vcc
	global_store_dwordx2 v[30:31], v[52:53], off
	v_or_b32_e32 v30, 0xa00, v28
	v_mov_b32_e32 v31, v29
	v_lshlrev_b64 v[30:31], 3, v[30:31]
	v_add_co_u32_e32 v30, vcc, s2, v30
	v_addc_co_u32_e32 v31, vcc, v32, v31, vcc
	global_store_dwordx2 v[30:31], v[46:47], off
	v_or_b32_e32 v30, 0xb00, v28
	v_mov_b32_e32 v31, v29
	v_lshlrev_b64 v[30:31], 3, v[30:31]
	v_add_co_u32_e32 v30, vcc, s2, v30
	v_addc_co_u32_e32 v31, vcc, v32, v31, vcc
	global_store_dwordx2 v[30:31], v[48:49], off
	v_or_b32_e32 v30, 0xc00, v28
	v_mov_b32_e32 v31, v29
	v_lshlrev_b64 v[30:31], 3, v[30:31]
	v_add_co_u32_e32 v30, vcc, s2, v30
	v_addc_co_u32_e32 v31, vcc, v32, v31, vcc
	s_waitcnt vmcnt(36)
	global_store_dwordx2 v[30:31], v[58:59], off
	v_or_b32_e32 v30, 0xd00, v28
	v_mov_b32_e32 v31, v29
	v_lshlrev_b64 v[30:31], 3, v[30:31]
	v_add_co_u32_e32 v30, vcc, s2, v30
	v_addc_co_u32_e32 v31, vcc, v32, v31, vcc
	global_store_dwordx2 v[30:31], v[60:61], off
	v_or_b32_e32 v30, 0xe00, v28
	v_mov_b32_e32 v31, v29
	v_lshlrev_b64 v[30:31], 3, v[30:31]
	v_add_co_u32_e32 v30, vcc, s2, v30
	v_addc_co_u32_e32 v31, vcc, v32, v31, vcc
	;; [unrolled: 25-line block ×3, first 2 shown]
	global_store_dwordx2 v[30:31], v[70:71], off
	v_or_b32_e32 v30, 0x1300, v28
	v_mov_b32_e32 v31, v29
	v_lshlrev_b64 v[30:31], 3, v[30:31]
	v_add_co_u32_e32 v30, vcc, s2, v30
	v_addc_co_u32_e32 v31, vcc, v32, v31, vcc
	global_store_dwordx2 v[30:31], v[72:73], off
	v_or_b32_e32 v30, 0x1400, v28
	v_mov_b32_e32 v31, v29
	v_lshlrev_b64 v[30:31], 3, v[30:31]
	v_add_co_u32_e32 v30, vcc, s2, v30
	v_addc_co_u32_e32 v31, vcc, v32, v31, vcc
	global_store_dwordx2 v[30:31], v[66:67], off
	v_or_b32_e32 v30, 0x1500, v28
	v_mov_b32_e32 v31, v29
	v_lshlrev_b64 v[30:31], 3, v[30:31]
	v_add_co_u32_e32 v30, vcc, s2, v30
	v_addc_co_u32_e32 v31, vcc, v32, v31, vcc
	global_store_dwordx2 v[30:31], v[68:69], off
	v_or_b32_e32 v30, 0x1600, v28
	v_mov_b32_e32 v31, v29
	v_lshlrev_b64 v[30:31], 3, v[30:31]
	v_add_co_u32_e32 v30, vcc, s2, v30
	v_addc_co_u32_e32 v31, vcc, v32, v31, vcc
	global_store_dwordx2 v[30:31], v[62:63], off
	v_or_b32_e32 v30, 0x1700, v28
	v_mov_b32_e32 v31, v29
	v_lshlrev_b64 v[30:31], 3, v[30:31]
	v_add_co_u32_e32 v30, vcc, s2, v30
	v_addc_co_u32_e32 v31, vcc, v32, v31, vcc
	global_store_dwordx2 v[30:31], v[64:65], off
	v_or_b32_e32 v30, 0x1800, v28
	v_mov_b32_e32 v31, v29
	v_lshlrev_b64 v[30:31], 3, v[30:31]
	v_add_co_u32_e32 v30, vcc, s2, v30
	v_addc_co_u32_e32 v31, vcc, v32, v31, vcc
	s_waitcnt vmcnt(40)
	global_store_dwordx2 v[30:31], v[90:91], off
	v_or_b32_e32 v30, 0x1900, v28
	v_mov_b32_e32 v31, v29
	v_lshlrev_b64 v[30:31], 3, v[30:31]
	v_add_co_u32_e32 v30, vcc, s2, v30
	v_addc_co_u32_e32 v31, vcc, v32, v31, vcc
	global_store_dwordx2 v[30:31], v[92:93], off
	v_or_b32_e32 v30, 0x1a00, v28
	v_mov_b32_e32 v31, v29
	v_lshlrev_b64 v[30:31], 3, v[30:31]
	v_add_co_u32_e32 v30, vcc, s2, v30
	v_addc_co_u32_e32 v31, vcc, v32, v31, vcc
	global_store_dwordx2 v[30:31], v[86:87], off
	v_or_b32_e32 v30, 0x1b00, v28
	v_mov_b32_e32 v31, v29
	v_lshlrev_b64 v[30:31], 3, v[30:31]
	v_add_co_u32_e32 v30, vcc, s2, v30
	v_addc_co_u32_e32 v31, vcc, v32, v31, vcc
	global_store_dwordx2 v[30:31], v[88:89], off
	v_or_b32_e32 v30, 0x1c00, v28
	v_mov_b32_e32 v31, v29
	v_lshlrev_b64 v[30:31], 3, v[30:31]
	v_add_co_u32_e32 v30, vcc, s2, v30
	v_addc_co_u32_e32 v31, vcc, v32, v31, vcc
	global_store_dwordx2 v[30:31], v[82:83], off
	v_or_b32_e32 v30, 0x1d00, v28
	v_mov_b32_e32 v31, v29
	v_lshlrev_b64 v[30:31], 3, v[30:31]
	v_add_co_u32_e32 v30, vcc, s2, v30
	v_addc_co_u32_e32 v31, vcc, v32, v31, vcc
	global_store_dwordx2 v[30:31], v[84:85], off
	v_or_b32_e32 v30, 0x1e00, v28
	v_mov_b32_e32 v31, v29
	v_lshlrev_b64 v[30:31], 3, v[30:31]
	v_add_co_u32_e32 v30, vcc, s2, v30
	v_addc_co_u32_e32 v31, vcc, v32, v31, vcc
	global_store_dwordx2 v[30:31], v[78:79], off
	v_or_b32_e32 v30, 0x1f00, v28
	v_mov_b32_e32 v31, v29
	v_lshlrev_b64 v[30:31], 3, v[30:31]
	v_add_co_u32_e32 v30, vcc, s2, v30
	v_addc_co_u32_e32 v31, vcc, v32, v31, vcc
	global_store_dwordx2 v[30:31], v[80:81], off
	v_or_b32_e32 v30, 0x2000, v28
	v_mov_b32_e32 v31, v29
	v_lshlrev_b64 v[30:31], 3, v[30:31]
	v_add_co_u32_e32 v30, vcc, s2, v30
	v_addc_co_u32_e32 v31, vcc, v32, v31, vcc
	s_waitcnt vmcnt(44)
	global_store_dwordx2 v[30:31], v[106:107], off
	v_or_b32_e32 v30, 0x2100, v28
	v_mov_b32_e32 v31, v29
	v_lshlrev_b64 v[30:31], 3, v[30:31]
	v_add_co_u32_e32 v30, vcc, s2, v30
	v_addc_co_u32_e32 v31, vcc, v32, v31, vcc
	global_store_dwordx2 v[30:31], v[108:109], off
	v_or_b32_e32 v30, 0x2200, v28
	v_mov_b32_e32 v31, v29
	v_lshlrev_b64 v[30:31], 3, v[30:31]
	v_add_co_u32_e32 v30, vcc, s2, v30
	v_addc_co_u32_e32 v31, vcc, v32, v31, vcc
	;; [unrolled: 49-line block ×4, first 2 shown]
	global_store_dwordx2 v[30:31], v[24:25], off
	v_or_b32_e32 v24, 0x3300, v28
	v_mov_b32_e32 v25, v29
	v_lshlrev_b64 v[24:25], 3, v[24:25]
	v_mov_b32_e32 v30, s3
	v_add_co_u32_e32 v24, vcc, s2, v24
	v_addc_co_u32_e32 v25, vcc, v30, v25, vcc
	global_store_dwordx2 v[24:25], v[26:27], off
	v_or_b32_e32 v24, 0x3400, v28
	v_mov_b32_e32 v25, v29
	v_lshlrev_b64 v[24:25], 3, v[24:25]
	v_mov_b32_e32 v26, s3
	v_add_co_u32_e32 v24, vcc, s2, v24
	v_addc_co_u32_e32 v25, vcc, v26, v25, vcc
	;; [unrolled: 7-line block ×6, first 2 shown]
	s_waitcnt vmcnt(56)
	global_store_dwordx2 v[16:17], v[12:13], off
	v_or_b32_e32 v12, 0x3900, v28
	v_mov_b32_e32 v13, v29
	v_lshlrev_b64 v[12:13], 3, v[12:13]
	v_mov_b32_e32 v16, s3
	v_add_co_u32_e32 v12, vcc, s2, v12
	v_addc_co_u32_e32 v13, vcc, v16, v13, vcc
	global_store_dwordx2 v[12:13], v[14:15], off
	v_or_b32_e32 v12, 0x3a00, v28
	v_mov_b32_e32 v13, v29
	v_lshlrev_b64 v[12:13], 3, v[12:13]
	v_mov_b32_e32 v14, s3
	v_add_co_u32_e32 v12, vcc, s2, v12
	v_addc_co_u32_e32 v13, vcc, v14, v13, vcc
	;; [unrolled: 7-line block ×6, first 2 shown]
	v_or_b32_e32 v28, 0x3f00, v28
	global_store_dwordx2 v[4:5], v[0:1], off
	v_lshlrev_b64 v[0:1], 3, v[28:29]
	v_mov_b32_e32 v4, s3
	v_add_co_u32_e32 v0, vcc, s2, v0
	v_addc_co_u32_e32 v1, vcc, v4, v1, vcc
	global_store_dwordx2 v[0:1], v[2:3], off
	s_endpgm
	.section	.rodata,"a",@progbits
	.p2align	6, 0x0
	.amdhsa_kernel _Z16warp_load_kernelILj256ELj64ELj64ELN6hipcub17WarpLoadAlgorithmE0EdEvPT3_S3_
		.amdhsa_group_segment_fixed_size 0
		.amdhsa_private_segment_fixed_size 0
		.amdhsa_kernarg_size 16
		.amdhsa_user_sgpr_count 6
		.amdhsa_user_sgpr_private_segment_buffer 1
		.amdhsa_user_sgpr_dispatch_ptr 0
		.amdhsa_user_sgpr_queue_ptr 0
		.amdhsa_user_sgpr_kernarg_segment_ptr 1
		.amdhsa_user_sgpr_dispatch_id 0
		.amdhsa_user_sgpr_flat_scratch_init 0
		.amdhsa_user_sgpr_kernarg_preload_length 0
		.amdhsa_user_sgpr_kernarg_preload_offset 0
		.amdhsa_user_sgpr_private_segment_size 0
		.amdhsa_uses_dynamic_stack 0
		.amdhsa_system_sgpr_private_segment_wavefront_offset 0
		.amdhsa_system_sgpr_workgroup_id_x 1
		.amdhsa_system_sgpr_workgroup_id_y 0
		.amdhsa_system_sgpr_workgroup_id_z 0
		.amdhsa_system_sgpr_workgroup_info 0
		.amdhsa_system_vgpr_workitem_id 0
		.amdhsa_next_free_vgpr 138
		.amdhsa_next_free_sgpr 7
		.amdhsa_accum_offset 140
		.amdhsa_reserve_vcc 1
		.amdhsa_reserve_flat_scratch 0
		.amdhsa_float_round_mode_32 0
		.amdhsa_float_round_mode_16_64 0
		.amdhsa_float_denorm_mode_32 3
		.amdhsa_float_denorm_mode_16_64 3
		.amdhsa_dx10_clamp 1
		.amdhsa_ieee_mode 1
		.amdhsa_fp16_overflow 0
		.amdhsa_tg_split 0
		.amdhsa_exception_fp_ieee_invalid_op 0
		.amdhsa_exception_fp_denorm_src 0
		.amdhsa_exception_fp_ieee_div_zero 0
		.amdhsa_exception_fp_ieee_overflow 0
		.amdhsa_exception_fp_ieee_underflow 0
		.amdhsa_exception_fp_ieee_inexact 0
		.amdhsa_exception_int_div_zero 0
	.end_amdhsa_kernel
	.section	.text._Z16warp_load_kernelILj256ELj64ELj64ELN6hipcub17WarpLoadAlgorithmE0EdEvPT3_S3_,"axG",@progbits,_Z16warp_load_kernelILj256ELj64ELj64ELN6hipcub17WarpLoadAlgorithmE0EdEvPT3_S3_,comdat
.Lfunc_end70:
	.size	_Z16warp_load_kernelILj256ELj64ELj64ELN6hipcub17WarpLoadAlgorithmE0EdEvPT3_S3_, .Lfunc_end70-_Z16warp_load_kernelILj256ELj64ELj64ELN6hipcub17WarpLoadAlgorithmE0EdEvPT3_S3_
                                        ; -- End function
	.section	.AMDGPU.csdata,"",@progbits
; Kernel info:
; codeLenInByte = 2732
; NumSgprs: 11
; NumVgprs: 138
; NumAgprs: 0
; TotalNumVgprs: 138
; ScratchSize: 0
; MemoryBound: 1
; FloatMode: 240
; IeeeMode: 1
; LDSByteSize: 0 bytes/workgroup (compile time only)
; SGPRBlocks: 1
; VGPRBlocks: 17
; NumSGPRsForWavesPerEU: 11
; NumVGPRsForWavesPerEU: 138
; AccumOffset: 140
; Occupancy: 3
; WaveLimiterHint : 1
; COMPUTE_PGM_RSRC2:SCRATCH_EN: 0
; COMPUTE_PGM_RSRC2:USER_SGPR: 6
; COMPUTE_PGM_RSRC2:TRAP_HANDLER: 0
; COMPUTE_PGM_RSRC2:TGID_X_EN: 1
; COMPUTE_PGM_RSRC2:TGID_Y_EN: 0
; COMPUTE_PGM_RSRC2:TGID_Z_EN: 0
; COMPUTE_PGM_RSRC2:TIDIG_COMP_CNT: 0
; COMPUTE_PGM_RSRC3_GFX90A:ACCUM_OFFSET: 34
; COMPUTE_PGM_RSRC3_GFX90A:TG_SPLIT: 0
	.section	.text._Z16warp_load_kernelILj256ELj64ELj64ELN6hipcub17WarpLoadAlgorithmE1EdEvPT3_S3_,"axG",@progbits,_Z16warp_load_kernelILj256ELj64ELj64ELN6hipcub17WarpLoadAlgorithmE1EdEvPT3_S3_,comdat
	.protected	_Z16warp_load_kernelILj256ELj64ELj64ELN6hipcub17WarpLoadAlgorithmE1EdEvPT3_S3_ ; -- Begin function _Z16warp_load_kernelILj256ELj64ELj64ELN6hipcub17WarpLoadAlgorithmE1EdEvPT3_S3_
	.globl	_Z16warp_load_kernelILj256ELj64ELj64ELN6hipcub17WarpLoadAlgorithmE1EdEvPT3_S3_
	.p2align	8
	.type	_Z16warp_load_kernelILj256ELj64ELj64ELN6hipcub17WarpLoadAlgorithmE1EdEvPT3_S3_,@function
_Z16warp_load_kernelILj256ELj64ELj64ELN6hipcub17WarpLoadAlgorithmE1EdEvPT3_S3_: ; @_Z16warp_load_kernelILj256ELj64ELj64ELN6hipcub17WarpLoadAlgorithmE1EdEvPT3_S3_
; %bb.0:
	s_load_dwordx4 s[0:3], s[4:5], 0x0
	v_lshlrev_b32_e32 v2, 6, v0
	s_lshl_b32 s4, s6, 14
	v_and_b32_e32 v2, 0x3000, v2
	v_or_b32_e32 v2, s4, v2
	v_mov_b32_e32 v3, 0
	v_mbcnt_lo_u32_b32 v1, -1, 0
	v_lshlrev_b64 v[4:5], 3, v[2:3]
	v_mbcnt_hi_u32_b32 v1, -1, v1
	s_waitcnt lgkmcnt(0)
	v_mov_b32_e32 v2, s1
	v_add_co_u32_e32 v4, vcc, s0, v4
	v_addc_co_u32_e32 v2, vcc, v2, v5, vcc
	v_lshlrev_b32_e32 v5, 3, v1
	v_add_co_u32_e32 v4, vcc, v4, v5
	v_lshlrev_b32_e32 v1, 9, v1
	v_addc_co_u32_e32 v2, vcc, 0, v2, vcc
	v_and_b32_e32 v1, 0x8000, v1
	v_add_co_u32_e32 v4, vcc, v4, v1
	v_addc_co_u32_e32 v5, vcc, 0, v2, vcc
	global_load_dwordx2 v[98:99], v[4:5], off
	global_load_dwordx2 v[100:101], v[4:5], off offset:512
	global_load_dwordx2 v[102:103], v[4:5], off offset:1024
	;; [unrolled: 1-line block ×7, first 2 shown]
	s_movk_i32 s0, 0x1000
	v_add_co_u32_e32 v6, vcc, s0, v4
	v_addc_co_u32_e32 v7, vcc, 0, v5, vcc
	s_movk_i32 s0, 0x2000
	v_add_co_u32_e32 v8, vcc, s0, v4
	v_addc_co_u32_e32 v9, vcc, 0, v5, vcc
	global_load_dwordx2 v[114:115], v[8:9], off offset:-4096
	global_load_dwordx2 v[94:95], v[8:9], off
	global_load_dwordx2 v[90:91], v[8:9], off offset:512
	global_load_dwordx2 v[86:87], v[8:9], off offset:1024
	;; [unrolled: 1-line block ×5, first 2 shown]
	s_movk_i32 s5, 0x3000
	v_add_co_u32_e32 v10, vcc, s5, v4
	v_addc_co_u32_e32 v11, vcc, 0, v5, vcc
	s_movk_i32 s0, 0x4000
	v_add_co_u32_e32 v12, vcc, s0, v4
	v_addc_co_u32_e32 v13, vcc, 0, v5, vcc
	s_movk_i32 s0, 0x5000
	global_load_dwordx2 v[72:73], v[8:9], off offset:3072
	global_load_dwordx2 v[68:69], v[8:9], off offset:3584
	global_load_dwordx2 v[66:67], v[12:13], off offset:-4096
	global_load_dwordx2 v[54:55], v[12:13], off
	v_add_co_u32_e32 v8, vcc, s0, v4
	v_addc_co_u32_e32 v9, vcc, 0, v5, vcc
	s_movk_i32 s0, 0x6000
	v_add_co_u32_e32 v16, vcc, s0, v4
	v_addc_co_u32_e32 v17, vcc, 0, v5, vcc
	s_movk_i32 s0, 0x7000
	v_add_co_u32_e32 v116, vcc, s0, v4
	v_or_b32_e32 v2, s4, v0
	v_addc_co_u32_e32 v117, vcc, 0, v5, vcc
	v_lshlrev_b64 v[0:1], 3, v[2:3]
	v_mov_b32_e32 v4, s3
	v_add_co_u32_e32 v118, vcc, s2, v0
	v_addc_co_u32_e32 v119, vcc, v4, v1, vcc
	global_load_dwordx2 v[64:65], v[12:13], off offset:512
	global_load_dwordx2 v[62:63], v[12:13], off offset:1024
	global_load_dwordx2 v[60:61], v[12:13], off offset:1536
	global_load_dwordx2 v[58:59], v[12:13], off offset:2048
	global_load_dwordx2 v[56:57], v[12:13], off offset:2560
	global_load_dwordx2 v[52:53], v[12:13], off offset:3072
	global_load_dwordx2 v[48:49], v[12:13], off offset:3584
	global_load_dwordx2 v[44:45], v[16:17], off offset:-4096
	global_load_dwordx2 v[32:33], v[16:17], off
	global_load_dwordx2 v[30:31], v[16:17], off offset:512
	global_load_dwordx2 v[28:29], v[16:17], off offset:1024
	;; [unrolled: 1-line block ×6, first 2 shown]
                                        ; kill: killed $vgpr12 killed $vgpr13
	global_load_dwordx2 v[14:15], v[16:17], off offset:3584
	global_load_dwordx2 v[120:121], v[6:7], off offset:512
	global_load_dwordx2 v[122:123], v[6:7], off offset:1024
	global_load_dwordx2 v[124:125], v[6:7], off offset:1536
	global_load_dwordx2 v[126:127], v[6:7], off offset:2048
	global_load_dwordx2 v[128:129], v[6:7], off offset:2560
	global_load_dwordx2 v[130:131], v[6:7], off offset:3072
	global_load_dwordx2 v[132:133], v[6:7], off offset:3584
	global_load_dwordx2 v[96:97], v[10:11], off offset:512
	global_load_dwordx2 v[92:93], v[10:11], off offset:1024
	global_load_dwordx2 v[88:89], v[10:11], off offset:1536
	global_load_dwordx2 v[84:85], v[10:11], off offset:2048
	global_load_dwordx2 v[80:81], v[10:11], off offset:2560
	global_load_dwordx2 v[76:77], v[10:11], off offset:3072
	global_load_dwordx2 v[70:71], v[10:11], off offset:3584
                                        ; kill: killed $vgpr6 killed $vgpr7
                                        ; kill: killed $vgpr10 killed $vgpr11
                                        ; kill: killed $vgpr16 killed $vgpr17
	global_load_dwordx2 v[50:51], v[8:9], off offset:512
	global_load_dwordx2 v[46:47], v[8:9], off offset:1024
	;; [unrolled: 1-line block ×7, first 2 shown]
	global_load_dwordx2 v[20:21], v[116:117], off
	global_load_dwordx2 v[16:17], v[116:117], off offset:512
	global_load_dwordx2 v[12:13], v[116:117], off offset:1024
	;; [unrolled: 1-line block ×3, first 2 shown]
                                        ; kill: killed $vgpr8 killed $vgpr9
	s_nop 0
	global_load_dwordx2 v[8:9], v[116:117], off offset:2048
	global_load_dwordx2 v[6:7], v[116:117], off offset:2560
	;; [unrolled: 1-line block ×4, first 2 shown]
	s_waitcnt vmcnt(62)
	global_store_dwordx2 v[118:119], v[98:99], off
	global_store_dwordx2 v[118:119], v[100:101], off offset:2048
	v_or_b32_e32 v98, 0x200, v2
	v_mov_b32_e32 v99, v3
	v_lshlrev_b64 v[98:99], 3, v[98:99]
	v_mov_b32_e32 v100, s3
	v_add_co_u32_e32 v98, vcc, s2, v98
	v_addc_co_u32_e32 v99, vcc, v100, v99, vcc
	s_waitcnt vmcnt(62)
	global_store_dwordx2 v[98:99], v[102:103], off
	v_or_b32_e32 v98, 0x300, v2
	v_mov_b32_e32 v99, v3
	v_lshlrev_b64 v[98:99], 3, v[98:99]
	v_add_co_u32_e32 v98, vcc, s2, v98
	v_addc_co_u32_e32 v99, vcc, v100, v99, vcc
	global_store_dwordx2 v[98:99], v[104:105], off
	v_or_b32_e32 v98, 0x400, v2
	v_mov_b32_e32 v99, v3
	v_lshlrev_b64 v[98:99], 3, v[98:99]
	v_add_co_u32_e32 v98, vcc, s2, v98
	v_addc_co_u32_e32 v99, vcc, v100, v99, vcc
	s_waitcnt vmcnt(62)
	global_store_dwordx2 v[98:99], v[106:107], off
	v_or_b32_e32 v98, 0x500, v2
	v_mov_b32_e32 v99, v3
	v_lshlrev_b64 v[98:99], 3, v[98:99]
	v_add_co_u32_e32 v98, vcc, s2, v98
	v_addc_co_u32_e32 v99, vcc, v100, v99, vcc
	global_store_dwordx2 v[98:99], v[108:109], off
	v_or_b32_e32 v98, 0x600, v2
	v_mov_b32_e32 v99, v3
	v_lshlrev_b64 v[98:99], 3, v[98:99]
	;; [unrolled: 13-line block ×3, first 2 shown]
	v_add_co_u32_e32 v98, vcc, s2, v98
	v_addc_co_u32_e32 v99, vcc, v100, v99, vcc
	s_waitcnt vmcnt(62)
	global_store_dwordx2 v[98:99], v[114:115], off
	v_or_b32_e32 v98, 0x900, v2
	v_mov_b32_e32 v99, v3
	v_lshlrev_b64 v[98:99], 3, v[98:99]
	v_add_co_u32_e32 v98, vcc, s2, v98
	v_addc_co_u32_e32 v99, vcc, v100, v99, vcc
	s_waitcnt vmcnt(37)
	global_store_dwordx2 v[98:99], v[120:121], off
	v_or_b32_e32 v98, 0xa00, v2
	v_mov_b32_e32 v99, v3
	v_lshlrev_b64 v[98:99], 3, v[98:99]
	;; [unrolled: 7-line block ×8, first 2 shown]
	v_add_co_u32_e32 v98, vcc, s2, v98
	v_addc_co_u32_e32 v99, vcc, v100, v99, vcc
	global_store_dwordx2 v[98:99], v[94:95], off
	v_or_b32_e32 v94, 0x1100, v2
	v_mov_b32_e32 v95, v3
	v_lshlrev_b64 v[94:95], 3, v[94:95]
	v_mov_b32_e32 v98, s3
	v_add_co_u32_e32 v94, vcc, s2, v94
	v_addc_co_u32_e32 v95, vcc, v98, v95, vcc
	global_store_dwordx2 v[94:95], v[90:91], off
	v_or_b32_e32 v90, 0x1200, v2
	v_mov_b32_e32 v91, v3
	v_lshlrev_b64 v[90:91], 3, v[90:91]
	v_mov_b32_e32 v94, s3
	;; [unrolled: 7-line block ×9, first 2 shown]
	v_add_co_u32_e32 v66, vcc, s2, v66
	v_addc_co_u32_e32 v67, vcc, v68, v67, vcc
	s_waitcnt vmcnt(46)
	global_store_dwordx2 v[66:67], v[96:97], off
	v_or_b32_e32 v66, 0x1a00, v2
	v_mov_b32_e32 v67, v3
	v_lshlrev_b64 v[66:67], 3, v[66:67]
	v_add_co_u32_e32 v66, vcc, s2, v66
	v_addc_co_u32_e32 v67, vcc, v68, v67, vcc
	s_waitcnt vmcnt(46)
	global_store_dwordx2 v[66:67], v[92:93], off
	v_or_b32_e32 v66, 0x1b00, v2
	v_mov_b32_e32 v67, v3
	v_lshlrev_b64 v[66:67], 3, v[66:67]
	;; [unrolled: 7-line block ×7, first 2 shown]
	v_add_co_u32_e32 v66, vcc, s2, v66
	v_addc_co_u32_e32 v67, vcc, v68, v67, vcc
	global_store_dwordx2 v[66:67], v[54:55], off
	v_or_b32_e32 v54, 0x2100, v2
	v_mov_b32_e32 v55, v3
	v_lshlrev_b64 v[54:55], 3, v[54:55]
	v_mov_b32_e32 v66, s3
	v_add_co_u32_e32 v54, vcc, s2, v54
	v_addc_co_u32_e32 v55, vcc, v66, v55, vcc
	global_store_dwordx2 v[54:55], v[64:65], off
	v_or_b32_e32 v54, 0x2200, v2
	v_mov_b32_e32 v55, v3
	v_lshlrev_b64 v[54:55], 3, v[54:55]
	v_mov_b32_e32 v64, s3
	v_add_co_u32_e32 v54, vcc, s2, v54
	v_addc_co_u32_e32 v55, vcc, v64, v55, vcc
	global_store_dwordx2 v[54:55], v[62:63], off
	v_or_b32_e32 v54, 0x2300, v2
	v_mov_b32_e32 v55, v3
	v_lshlrev_b64 v[54:55], 3, v[54:55]
	v_mov_b32_e32 v62, s3
	v_add_co_u32_e32 v54, vcc, s2, v54
	v_addc_co_u32_e32 v55, vcc, v62, v55, vcc
	global_store_dwordx2 v[54:55], v[60:61], off
	v_or_b32_e32 v54, 0x2400, v2
	v_mov_b32_e32 v55, v3
	v_lshlrev_b64 v[54:55], 3, v[54:55]
	v_mov_b32_e32 v60, s3
	v_add_co_u32_e32 v54, vcc, s2, v54
	v_addc_co_u32_e32 v55, vcc, v60, v55, vcc
	global_store_dwordx2 v[54:55], v[58:59], off
	v_or_b32_e32 v54, 0x2500, v2
	v_mov_b32_e32 v55, v3
	v_lshlrev_b64 v[54:55], 3, v[54:55]
	v_mov_b32_e32 v58, s3
	v_add_co_u32_e32 v54, vcc, s2, v54
	v_addc_co_u32_e32 v55, vcc, v58, v55, vcc
	global_store_dwordx2 v[54:55], v[56:57], off
	v_or_b32_e32 v54, 0x2600, v2
	v_mov_b32_e32 v55, v3
	v_lshlrev_b64 v[54:55], 3, v[54:55]
	v_mov_b32_e32 v56, s3
	v_add_co_u32_e32 v54, vcc, s2, v54
	v_addc_co_u32_e32 v55, vcc, v56, v55, vcc
	global_store_dwordx2 v[54:55], v[52:53], off
	v_or_b32_e32 v52, 0x2700, v2
	v_mov_b32_e32 v53, v3
	v_lshlrev_b64 v[52:53], 3, v[52:53]
	v_mov_b32_e32 v54, s3
	v_add_co_u32_e32 v52, vcc, s2, v52
	v_addc_co_u32_e32 v53, vcc, v54, v53, vcc
	global_store_dwordx2 v[52:53], v[48:49], off
	v_or_b32_e32 v48, 0x2800, v2
	v_mov_b32_e32 v49, v3
	v_lshlrev_b64 v[48:49], 3, v[48:49]
	v_mov_b32_e32 v52, s3
	v_add_co_u32_e32 v48, vcc, s2, v48
	v_addc_co_u32_e32 v49, vcc, v52, v49, vcc
	global_store_dwordx2 v[48:49], v[44:45], off
	v_or_b32_e32 v44, 0x2900, v2
	v_mov_b32_e32 v45, v3
	v_lshlrev_b64 v[44:45], 3, v[44:45]
	v_mov_b32_e32 v48, s3
	v_add_co_u32_e32 v44, vcc, s2, v44
	v_addc_co_u32_e32 v45, vcc, v48, v45, vcc
	s_waitcnt vmcnt(55)
	global_store_dwordx2 v[44:45], v[50:51], off
	v_or_b32_e32 v44, 0x2a00, v2
	v_mov_b32_e32 v45, v3
	v_lshlrev_b64 v[44:45], 3, v[44:45]
	v_add_co_u32_e32 v44, vcc, s2, v44
	v_addc_co_u32_e32 v45, vcc, v48, v45, vcc
	s_waitcnt vmcnt(55)
	global_store_dwordx2 v[44:45], v[46:47], off
	v_or_b32_e32 v44, 0x2b00, v2
	v_mov_b32_e32 v45, v3
	v_lshlrev_b64 v[44:45], 3, v[44:45]
	v_mov_b32_e32 v46, s3
	v_add_co_u32_e32 v44, vcc, s2, v44
	v_addc_co_u32_e32 v45, vcc, v46, v45, vcc
	s_waitcnt vmcnt(55)
	global_store_dwordx2 v[44:45], v[42:43], off
	v_or_b32_e32 v42, 0x2c00, v2
	v_mov_b32_e32 v43, v3
	v_lshlrev_b64 v[42:43], 3, v[42:43]
	v_mov_b32_e32 v44, s3
	;; [unrolled: 8-line block ×6, first 2 shown]
	v_add_co_u32_e32 v34, vcc, s2, v34
	v_addc_co_u32_e32 v35, vcc, v36, v35, vcc
	global_store_dwordx2 v[34:35], v[32:33], off
	v_or_b32_e32 v32, 0x3100, v2
	v_mov_b32_e32 v33, v3
	v_lshlrev_b64 v[32:33], 3, v[32:33]
	v_mov_b32_e32 v34, s3
	v_add_co_u32_e32 v32, vcc, s2, v32
	v_addc_co_u32_e32 v33, vcc, v34, v33, vcc
	global_store_dwordx2 v[32:33], v[30:31], off
	v_or_b32_e32 v30, 0x3200, v2
	v_mov_b32_e32 v31, v3
	v_lshlrev_b64 v[30:31], 3, v[30:31]
	v_mov_b32_e32 v32, s3
	;; [unrolled: 7-line block ×8, first 2 shown]
	v_add_co_u32_e32 v14, vcc, s2, v14
	v_addc_co_u32_e32 v15, vcc, v18, v15, vcc
	s_waitcnt vmcnt(62)
	global_store_dwordx2 v[14:15], v[20:21], off
	v_or_b32_e32 v14, 0x3900, v2
	v_mov_b32_e32 v15, v3
	v_lshlrev_b64 v[14:15], 3, v[14:15]
	v_add_co_u32_e32 v14, vcc, s2, v14
	v_addc_co_u32_e32 v15, vcc, v18, v15, vcc
	global_store_dwordx2 v[14:15], v[16:17], off
	v_or_b32_e32 v14, 0x3a00, v2
	v_mov_b32_e32 v15, v3
	v_lshlrev_b64 v[14:15], 3, v[14:15]
	v_mov_b32_e32 v16, s3
	v_add_co_u32_e32 v14, vcc, s2, v14
	v_addc_co_u32_e32 v15, vcc, v16, v15, vcc
	s_waitcnt vmcnt(62)
	global_store_dwordx2 v[14:15], v[12:13], off
	v_or_b32_e32 v12, 0x3b00, v2
	v_mov_b32_e32 v13, v3
	v_lshlrev_b64 v[12:13], 3, v[12:13]
	v_mov_b32_e32 v14, s3
	v_add_co_u32_e32 v12, vcc, s2, v12
	v_addc_co_u32_e32 v13, vcc, v14, v13, vcc
	global_store_dwordx2 v[12:13], v[10:11], off
	v_or_b32_e32 v10, 0x3c00, v2
	v_mov_b32_e32 v11, v3
	v_lshlrev_b64 v[10:11], 3, v[10:11]
	v_mov_b32_e32 v12, s3
	v_add_co_u32_e32 v10, vcc, s2, v10
	v_addc_co_u32_e32 v11, vcc, v12, v11, vcc
	s_waitcnt vmcnt(62)
	global_store_dwordx2 v[10:11], v[8:9], off
	v_or_b32_e32 v8, 0x3d00, v2
	v_mov_b32_e32 v9, v3
	v_lshlrev_b64 v[8:9], 3, v[8:9]
	v_mov_b32_e32 v10, s3
	v_add_co_u32_e32 v8, vcc, s2, v8
	v_addc_co_u32_e32 v9, vcc, v10, v9, vcc
	global_store_dwordx2 v[8:9], v[6:7], off
	v_or_b32_e32 v6, 0x3e00, v2
	v_mov_b32_e32 v7, v3
	v_lshlrev_b64 v[6:7], 3, v[6:7]
	v_mov_b32_e32 v8, s3
	v_add_co_u32_e32 v6, vcc, s2, v6
	v_or_b32_e32 v2, 0x3f00, v2
	v_addc_co_u32_e32 v7, vcc, v8, v7, vcc
	v_lshlrev_b64 v[2:3], 3, v[2:3]
	s_waitcnt vmcnt(62)
	global_store_dwordx2 v[6:7], v[4:5], off
	v_mov_b32_e32 v4, s3
	v_add_co_u32_e32 v2, vcc, s2, v2
	v_addc_co_u32_e32 v3, vcc, v4, v3, vcc
	global_store_dwordx2 v[2:3], v[0:1], off
	s_endpgm
	.section	.rodata,"a",@progbits
	.p2align	6, 0x0
	.amdhsa_kernel _Z16warp_load_kernelILj256ELj64ELj64ELN6hipcub17WarpLoadAlgorithmE1EdEvPT3_S3_
		.amdhsa_group_segment_fixed_size 0
		.amdhsa_private_segment_fixed_size 0
		.amdhsa_kernarg_size 16
		.amdhsa_user_sgpr_count 6
		.amdhsa_user_sgpr_private_segment_buffer 1
		.amdhsa_user_sgpr_dispatch_ptr 0
		.amdhsa_user_sgpr_queue_ptr 0
		.amdhsa_user_sgpr_kernarg_segment_ptr 1
		.amdhsa_user_sgpr_dispatch_id 0
		.amdhsa_user_sgpr_flat_scratch_init 0
		.amdhsa_user_sgpr_kernarg_preload_length 0
		.amdhsa_user_sgpr_kernarg_preload_offset 0
		.amdhsa_user_sgpr_private_segment_size 0
		.amdhsa_uses_dynamic_stack 0
		.amdhsa_system_sgpr_private_segment_wavefront_offset 0
		.amdhsa_system_sgpr_workgroup_id_x 1
		.amdhsa_system_sgpr_workgroup_id_y 0
		.amdhsa_system_sgpr_workgroup_id_z 0
		.amdhsa_system_sgpr_workgroup_info 0
		.amdhsa_system_vgpr_workitem_id 0
		.amdhsa_next_free_vgpr 134
		.amdhsa_next_free_sgpr 7
		.amdhsa_accum_offset 136
		.amdhsa_reserve_vcc 1
		.amdhsa_reserve_flat_scratch 0
		.amdhsa_float_round_mode_32 0
		.amdhsa_float_round_mode_16_64 0
		.amdhsa_float_denorm_mode_32 3
		.amdhsa_float_denorm_mode_16_64 3
		.amdhsa_dx10_clamp 1
		.amdhsa_ieee_mode 1
		.amdhsa_fp16_overflow 0
		.amdhsa_tg_split 0
		.amdhsa_exception_fp_ieee_invalid_op 0
		.amdhsa_exception_fp_denorm_src 0
		.amdhsa_exception_fp_ieee_div_zero 0
		.amdhsa_exception_fp_ieee_overflow 0
		.amdhsa_exception_fp_ieee_underflow 0
		.amdhsa_exception_fp_ieee_inexact 0
		.amdhsa_exception_int_div_zero 0
	.end_amdhsa_kernel
	.section	.text._Z16warp_load_kernelILj256ELj64ELj64ELN6hipcub17WarpLoadAlgorithmE1EdEvPT3_S3_,"axG",@progbits,_Z16warp_load_kernelILj256ELj64ELj64ELN6hipcub17WarpLoadAlgorithmE1EdEvPT3_S3_,comdat
.Lfunc_end71:
	.size	_Z16warp_load_kernelILj256ELj64ELj64ELN6hipcub17WarpLoadAlgorithmE1EdEvPT3_S3_, .Lfunc_end71-_Z16warp_load_kernelILj256ELj64ELj64ELN6hipcub17WarpLoadAlgorithmE1EdEvPT3_S3_
                                        ; -- End function
	.section	.AMDGPU.csdata,"",@progbits
; Kernel info:
; codeLenInByte = 3252
; NumSgprs: 11
; NumVgprs: 134
; NumAgprs: 0
; TotalNumVgprs: 134
; ScratchSize: 0
; MemoryBound: 1
; FloatMode: 240
; IeeeMode: 1
; LDSByteSize: 0 bytes/workgroup (compile time only)
; SGPRBlocks: 1
; VGPRBlocks: 16
; NumSGPRsForWavesPerEU: 11
; NumVGPRsForWavesPerEU: 134
; AccumOffset: 136
; Occupancy: 3
; WaveLimiterHint : 1
; COMPUTE_PGM_RSRC2:SCRATCH_EN: 0
; COMPUTE_PGM_RSRC2:USER_SGPR: 6
; COMPUTE_PGM_RSRC2:TRAP_HANDLER: 0
; COMPUTE_PGM_RSRC2:TGID_X_EN: 1
; COMPUTE_PGM_RSRC2:TGID_Y_EN: 0
; COMPUTE_PGM_RSRC2:TGID_Z_EN: 0
; COMPUTE_PGM_RSRC2:TIDIG_COMP_CNT: 0
; COMPUTE_PGM_RSRC3_GFX90A:ACCUM_OFFSET: 33
; COMPUTE_PGM_RSRC3_GFX90A:TG_SPLIT: 0
	.section	.text._Z16warp_load_kernelILj256ELj64ELj64ELN6hipcub17WarpLoadAlgorithmE2EdEvPT3_S3_,"axG",@progbits,_Z16warp_load_kernelILj256ELj64ELj64ELN6hipcub17WarpLoadAlgorithmE2EdEvPT3_S3_,comdat
	.protected	_Z16warp_load_kernelILj256ELj64ELj64ELN6hipcub17WarpLoadAlgorithmE2EdEvPT3_S3_ ; -- Begin function _Z16warp_load_kernelILj256ELj64ELj64ELN6hipcub17WarpLoadAlgorithmE2EdEvPT3_S3_
	.globl	_Z16warp_load_kernelILj256ELj64ELj64ELN6hipcub17WarpLoadAlgorithmE2EdEvPT3_S3_
	.p2align	8
	.type	_Z16warp_load_kernelILj256ELj64ELj64ELN6hipcub17WarpLoadAlgorithmE2EdEvPT3_S3_,@function
_Z16warp_load_kernelILj256ELj64ELj64ELN6hipcub17WarpLoadAlgorithmE2EdEvPT3_S3_: ; @_Z16warp_load_kernelILj256ELj64ELj64ELN6hipcub17WarpLoadAlgorithmE2EdEvPT3_S3_
; %bb.0:
	s_load_dwordx4 s[0:3], s[4:5], 0x0
	v_lshlrev_b32_e32 v2, 6, v0
	s_lshl_b32 s4, s6, 14
	v_and_b32_e32 v2, 0x3000, v2
	v_or_b32_e32 v28, s4, v2
	v_mov_b32_e32 v29, 0
	v_mbcnt_lo_u32_b32 v1, -1, 0
	v_lshlrev_b64 v[2:3], 3, v[28:29]
	v_mbcnt_hi_u32_b32 v1, -1, v1
	s_waitcnt lgkmcnt(0)
	v_mov_b32_e32 v4, s1
	v_add_co_u32_e32 v2, vcc, s0, v2
	v_addc_co_u32_e32 v3, vcc, v4, v3, vcc
	v_lshlrev_b32_e32 v1, 9, v1
	v_add_co_u32_e32 v12, vcc, v2, v1
	v_addc_co_u32_e32 v13, vcc, 0, v3, vcc
	global_load_dwordx4 v[30:33], v[12:13], off
	global_load_dwordx4 v[34:37], v[12:13], off offset:16
	global_load_dwordx4 v[38:41], v[12:13], off offset:32
	;; [unrolled: 1-line block ×5, first 2 shown]
	v_or_b32_e32 v28, s4, v0
	v_lshlrev_b64 v[6:7], 3, v[28:29]
	v_mov_b32_e32 v1, v29
	v_or_b32_e32 v0, 0x200, v28
	v_mov_b32_e32 v8, s3
	v_add_co_u32_e32 v130, vcc, s2, v6
	v_lshlrev_b64 v[0:1], 3, v[0:1]
	v_addc_co_u32_e32 v131, vcc, v8, v7, vcc
	v_mov_b32_e32 v3, v29
	v_or_b32_e32 v2, 0x300, v28
	v_mov_b32_e32 v9, s3
	v_add_co_u32_e32 v132, vcc, s2, v0
	v_lshlrev_b64 v[2:3], 3, v[2:3]
	v_addc_co_u32_e32 v133, vcc, v9, v1, vcc
	;; [unrolled: 6-line block ×3, first 2 shown]
	v_mov_b32_e32 v11, s3
	v_add_co_u32_e32 v136, vcc, s2, v4
	v_addc_co_u32_e32 v137, vcc, v11, v5, vcc
	global_load_dwordx4 v[54:57], v[12:13], off offset:112
	global_load_dwordx4 v[58:61], v[12:13], off offset:96
	global_load_dwordx4 v[62:65], v[12:13], off offset:176
	global_load_dwordx4 v[66:69], v[12:13], off offset:160
	global_load_dwordx4 v[70:73], v[12:13], off offset:144
	global_load_dwordx4 v[74:77], v[12:13], off offset:128
	global_load_dwordx4 v[78:81], v[12:13], off offset:240
	global_load_dwordx4 v[82:85], v[12:13], off offset:224
	global_load_dwordx4 v[86:89], v[12:13], off offset:208
	global_load_dwordx4 v[90:93], v[12:13], off offset:192
	global_load_dwordx4 v[94:97], v[12:13], off offset:304
	global_load_dwordx4 v[98:101], v[12:13], off offset:288
	global_load_dwordx4 v[102:105], v[12:13], off offset:272
	global_load_dwordx4 v[106:109], v[12:13], off offset:256
	global_load_dwordx4 v[110:113], v[12:13], off offset:368
	global_load_dwordx4 v[114:117], v[12:13], off offset:352
	global_load_dwordx4 v[118:121], v[12:13], off offset:336
	global_load_dwordx4 v[122:125], v[12:13], off offset:320
	global_load_dwordx4 v[16:19], v[12:13], off offset:432
	global_load_dwordx4 v[20:23], v[12:13], off offset:416
	global_load_dwordx4 v[24:27], v[12:13], off offset:400
	global_load_dwordx4 v[126:129], v[12:13], off offset:384
	global_load_dwordx4 v[0:3], v[12:13], off offset:496
	global_load_dwordx4 v[4:7], v[12:13], off offset:480
	global_load_dwordx4 v[8:11], v[12:13], off offset:464
	s_nop 0
	global_load_dwordx4 v[12:15], v[12:13], off offset:448
	s_waitcnt vmcnt(31)
	global_store_dwordx2 v[130:131], v[30:31], off
	global_store_dwordx2 v[130:131], v[32:33], off offset:2048
	s_waitcnt vmcnt(32)
	global_store_dwordx2 v[132:133], v[34:35], off
	global_store_dwordx2 v[134:135], v[36:37], off
	s_waitcnt vmcnt(33)
	global_store_dwordx2 v[136:137], v[38:39], off
	v_or_b32_e32 v30, 0x500, v28
	v_mov_b32_e32 v31, v29
	v_lshlrev_b64 v[30:31], 3, v[30:31]
	v_mov_b32_e32 v32, s3
	v_add_co_u32_e32 v30, vcc, s2, v30
	v_addc_co_u32_e32 v31, vcc, v32, v31, vcc
	global_store_dwordx2 v[30:31], v[40:41], off
	v_or_b32_e32 v30, 0x600, v28
	v_mov_b32_e32 v31, v29
	v_lshlrev_b64 v[30:31], 3, v[30:31]
	v_add_co_u32_e32 v30, vcc, s2, v30
	v_addc_co_u32_e32 v31, vcc, v32, v31, vcc
	s_waitcnt vmcnt(34)
	global_store_dwordx2 v[30:31], v[42:43], off
	v_or_b32_e32 v30, 0x700, v28
	v_mov_b32_e32 v31, v29
	v_lshlrev_b64 v[30:31], 3, v[30:31]
	v_add_co_u32_e32 v30, vcc, s2, v30
	v_addc_co_u32_e32 v31, vcc, v32, v31, vcc
	global_store_dwordx2 v[30:31], v[44:45], off
	v_or_b32_e32 v30, 0x800, v28
	v_mov_b32_e32 v31, v29
	v_lshlrev_b64 v[30:31], 3, v[30:31]
	v_add_co_u32_e32 v30, vcc, s2, v30
	v_addc_co_u32_e32 v31, vcc, v32, v31, vcc
	s_waitcnt vmcnt(34)
	global_store_dwordx2 v[30:31], v[50:51], off
	v_or_b32_e32 v30, 0x900, v28
	v_mov_b32_e32 v31, v29
	v_lshlrev_b64 v[30:31], 3, v[30:31]
	v_add_co_u32_e32 v30, vcc, s2, v30
	v_addc_co_u32_e32 v31, vcc, v32, v31, vcc
	global_store_dwordx2 v[30:31], v[52:53], off
	v_or_b32_e32 v30, 0xa00, v28
	v_mov_b32_e32 v31, v29
	v_lshlrev_b64 v[30:31], 3, v[30:31]
	v_add_co_u32_e32 v30, vcc, s2, v30
	v_addc_co_u32_e32 v31, vcc, v32, v31, vcc
	global_store_dwordx2 v[30:31], v[46:47], off
	v_or_b32_e32 v30, 0xb00, v28
	v_mov_b32_e32 v31, v29
	v_lshlrev_b64 v[30:31], 3, v[30:31]
	v_add_co_u32_e32 v30, vcc, s2, v30
	v_addc_co_u32_e32 v31, vcc, v32, v31, vcc
	global_store_dwordx2 v[30:31], v[48:49], off
	v_or_b32_e32 v30, 0xc00, v28
	v_mov_b32_e32 v31, v29
	v_lshlrev_b64 v[30:31], 3, v[30:31]
	v_add_co_u32_e32 v30, vcc, s2, v30
	v_addc_co_u32_e32 v31, vcc, v32, v31, vcc
	s_waitcnt vmcnt(36)
	global_store_dwordx2 v[30:31], v[58:59], off
	v_or_b32_e32 v30, 0xd00, v28
	v_mov_b32_e32 v31, v29
	v_lshlrev_b64 v[30:31], 3, v[30:31]
	v_add_co_u32_e32 v30, vcc, s2, v30
	v_addc_co_u32_e32 v31, vcc, v32, v31, vcc
	global_store_dwordx2 v[30:31], v[60:61], off
	v_or_b32_e32 v30, 0xe00, v28
	v_mov_b32_e32 v31, v29
	v_lshlrev_b64 v[30:31], 3, v[30:31]
	v_add_co_u32_e32 v30, vcc, s2, v30
	v_addc_co_u32_e32 v31, vcc, v32, v31, vcc
	;; [unrolled: 25-line block ×3, first 2 shown]
	global_store_dwordx2 v[30:31], v[70:71], off
	v_or_b32_e32 v30, 0x1300, v28
	v_mov_b32_e32 v31, v29
	v_lshlrev_b64 v[30:31], 3, v[30:31]
	v_add_co_u32_e32 v30, vcc, s2, v30
	v_addc_co_u32_e32 v31, vcc, v32, v31, vcc
	global_store_dwordx2 v[30:31], v[72:73], off
	v_or_b32_e32 v30, 0x1400, v28
	v_mov_b32_e32 v31, v29
	v_lshlrev_b64 v[30:31], 3, v[30:31]
	v_add_co_u32_e32 v30, vcc, s2, v30
	v_addc_co_u32_e32 v31, vcc, v32, v31, vcc
	global_store_dwordx2 v[30:31], v[66:67], off
	v_or_b32_e32 v30, 0x1500, v28
	v_mov_b32_e32 v31, v29
	v_lshlrev_b64 v[30:31], 3, v[30:31]
	v_add_co_u32_e32 v30, vcc, s2, v30
	v_addc_co_u32_e32 v31, vcc, v32, v31, vcc
	global_store_dwordx2 v[30:31], v[68:69], off
	v_or_b32_e32 v30, 0x1600, v28
	v_mov_b32_e32 v31, v29
	v_lshlrev_b64 v[30:31], 3, v[30:31]
	v_add_co_u32_e32 v30, vcc, s2, v30
	v_addc_co_u32_e32 v31, vcc, v32, v31, vcc
	global_store_dwordx2 v[30:31], v[62:63], off
	v_or_b32_e32 v30, 0x1700, v28
	v_mov_b32_e32 v31, v29
	v_lshlrev_b64 v[30:31], 3, v[30:31]
	v_add_co_u32_e32 v30, vcc, s2, v30
	v_addc_co_u32_e32 v31, vcc, v32, v31, vcc
	global_store_dwordx2 v[30:31], v[64:65], off
	v_or_b32_e32 v30, 0x1800, v28
	v_mov_b32_e32 v31, v29
	v_lshlrev_b64 v[30:31], 3, v[30:31]
	v_add_co_u32_e32 v30, vcc, s2, v30
	v_addc_co_u32_e32 v31, vcc, v32, v31, vcc
	s_waitcnt vmcnt(40)
	global_store_dwordx2 v[30:31], v[90:91], off
	v_or_b32_e32 v30, 0x1900, v28
	v_mov_b32_e32 v31, v29
	v_lshlrev_b64 v[30:31], 3, v[30:31]
	v_add_co_u32_e32 v30, vcc, s2, v30
	v_addc_co_u32_e32 v31, vcc, v32, v31, vcc
	global_store_dwordx2 v[30:31], v[92:93], off
	v_or_b32_e32 v30, 0x1a00, v28
	v_mov_b32_e32 v31, v29
	v_lshlrev_b64 v[30:31], 3, v[30:31]
	v_add_co_u32_e32 v30, vcc, s2, v30
	v_addc_co_u32_e32 v31, vcc, v32, v31, vcc
	global_store_dwordx2 v[30:31], v[86:87], off
	v_or_b32_e32 v30, 0x1b00, v28
	v_mov_b32_e32 v31, v29
	v_lshlrev_b64 v[30:31], 3, v[30:31]
	v_add_co_u32_e32 v30, vcc, s2, v30
	v_addc_co_u32_e32 v31, vcc, v32, v31, vcc
	global_store_dwordx2 v[30:31], v[88:89], off
	v_or_b32_e32 v30, 0x1c00, v28
	v_mov_b32_e32 v31, v29
	v_lshlrev_b64 v[30:31], 3, v[30:31]
	v_add_co_u32_e32 v30, vcc, s2, v30
	v_addc_co_u32_e32 v31, vcc, v32, v31, vcc
	global_store_dwordx2 v[30:31], v[82:83], off
	v_or_b32_e32 v30, 0x1d00, v28
	v_mov_b32_e32 v31, v29
	v_lshlrev_b64 v[30:31], 3, v[30:31]
	v_add_co_u32_e32 v30, vcc, s2, v30
	v_addc_co_u32_e32 v31, vcc, v32, v31, vcc
	global_store_dwordx2 v[30:31], v[84:85], off
	v_or_b32_e32 v30, 0x1e00, v28
	v_mov_b32_e32 v31, v29
	v_lshlrev_b64 v[30:31], 3, v[30:31]
	v_add_co_u32_e32 v30, vcc, s2, v30
	v_addc_co_u32_e32 v31, vcc, v32, v31, vcc
	global_store_dwordx2 v[30:31], v[78:79], off
	v_or_b32_e32 v30, 0x1f00, v28
	v_mov_b32_e32 v31, v29
	v_lshlrev_b64 v[30:31], 3, v[30:31]
	v_add_co_u32_e32 v30, vcc, s2, v30
	v_addc_co_u32_e32 v31, vcc, v32, v31, vcc
	global_store_dwordx2 v[30:31], v[80:81], off
	v_or_b32_e32 v30, 0x2000, v28
	v_mov_b32_e32 v31, v29
	v_lshlrev_b64 v[30:31], 3, v[30:31]
	v_add_co_u32_e32 v30, vcc, s2, v30
	v_addc_co_u32_e32 v31, vcc, v32, v31, vcc
	s_waitcnt vmcnt(44)
	global_store_dwordx2 v[30:31], v[106:107], off
	v_or_b32_e32 v30, 0x2100, v28
	v_mov_b32_e32 v31, v29
	v_lshlrev_b64 v[30:31], 3, v[30:31]
	v_add_co_u32_e32 v30, vcc, s2, v30
	v_addc_co_u32_e32 v31, vcc, v32, v31, vcc
	global_store_dwordx2 v[30:31], v[108:109], off
	v_or_b32_e32 v30, 0x2200, v28
	v_mov_b32_e32 v31, v29
	v_lshlrev_b64 v[30:31], 3, v[30:31]
	v_add_co_u32_e32 v30, vcc, s2, v30
	v_addc_co_u32_e32 v31, vcc, v32, v31, vcc
	;; [unrolled: 49-line block ×4, first 2 shown]
	global_store_dwordx2 v[30:31], v[24:25], off
	v_or_b32_e32 v24, 0x3300, v28
	v_mov_b32_e32 v25, v29
	v_lshlrev_b64 v[24:25], 3, v[24:25]
	v_mov_b32_e32 v30, s3
	v_add_co_u32_e32 v24, vcc, s2, v24
	v_addc_co_u32_e32 v25, vcc, v30, v25, vcc
	global_store_dwordx2 v[24:25], v[26:27], off
	v_or_b32_e32 v24, 0x3400, v28
	v_mov_b32_e32 v25, v29
	v_lshlrev_b64 v[24:25], 3, v[24:25]
	v_mov_b32_e32 v26, s3
	v_add_co_u32_e32 v24, vcc, s2, v24
	v_addc_co_u32_e32 v25, vcc, v26, v25, vcc
	;; [unrolled: 7-line block ×6, first 2 shown]
	s_waitcnt vmcnt(56)
	global_store_dwordx2 v[16:17], v[12:13], off
	v_or_b32_e32 v12, 0x3900, v28
	v_mov_b32_e32 v13, v29
	v_lshlrev_b64 v[12:13], 3, v[12:13]
	v_mov_b32_e32 v16, s3
	v_add_co_u32_e32 v12, vcc, s2, v12
	v_addc_co_u32_e32 v13, vcc, v16, v13, vcc
	global_store_dwordx2 v[12:13], v[14:15], off
	v_or_b32_e32 v12, 0x3a00, v28
	v_mov_b32_e32 v13, v29
	v_lshlrev_b64 v[12:13], 3, v[12:13]
	v_mov_b32_e32 v14, s3
	v_add_co_u32_e32 v12, vcc, s2, v12
	v_addc_co_u32_e32 v13, vcc, v14, v13, vcc
	;; [unrolled: 7-line block ×6, first 2 shown]
	v_or_b32_e32 v28, 0x3f00, v28
	global_store_dwordx2 v[4:5], v[0:1], off
	v_lshlrev_b64 v[0:1], 3, v[28:29]
	v_mov_b32_e32 v4, s3
	v_add_co_u32_e32 v0, vcc, s2, v0
	v_addc_co_u32_e32 v1, vcc, v4, v1, vcc
	global_store_dwordx2 v[0:1], v[2:3], off
	s_endpgm
	.section	.rodata,"a",@progbits
	.p2align	6, 0x0
	.amdhsa_kernel _Z16warp_load_kernelILj256ELj64ELj64ELN6hipcub17WarpLoadAlgorithmE2EdEvPT3_S3_
		.amdhsa_group_segment_fixed_size 0
		.amdhsa_private_segment_fixed_size 0
		.amdhsa_kernarg_size 16
		.amdhsa_user_sgpr_count 6
		.amdhsa_user_sgpr_private_segment_buffer 1
		.amdhsa_user_sgpr_dispatch_ptr 0
		.amdhsa_user_sgpr_queue_ptr 0
		.amdhsa_user_sgpr_kernarg_segment_ptr 1
		.amdhsa_user_sgpr_dispatch_id 0
		.amdhsa_user_sgpr_flat_scratch_init 0
		.amdhsa_user_sgpr_kernarg_preload_length 0
		.amdhsa_user_sgpr_kernarg_preload_offset 0
		.amdhsa_user_sgpr_private_segment_size 0
		.amdhsa_uses_dynamic_stack 0
		.amdhsa_system_sgpr_private_segment_wavefront_offset 0
		.amdhsa_system_sgpr_workgroup_id_x 1
		.amdhsa_system_sgpr_workgroup_id_y 0
		.amdhsa_system_sgpr_workgroup_id_z 0
		.amdhsa_system_sgpr_workgroup_info 0
		.amdhsa_system_vgpr_workitem_id 0
		.amdhsa_next_free_vgpr 138
		.amdhsa_next_free_sgpr 7
		.amdhsa_accum_offset 140
		.amdhsa_reserve_vcc 1
		.amdhsa_reserve_flat_scratch 0
		.amdhsa_float_round_mode_32 0
		.amdhsa_float_round_mode_16_64 0
		.amdhsa_float_denorm_mode_32 3
		.amdhsa_float_denorm_mode_16_64 3
		.amdhsa_dx10_clamp 1
		.amdhsa_ieee_mode 1
		.amdhsa_fp16_overflow 0
		.amdhsa_tg_split 0
		.amdhsa_exception_fp_ieee_invalid_op 0
		.amdhsa_exception_fp_denorm_src 0
		.amdhsa_exception_fp_ieee_div_zero 0
		.amdhsa_exception_fp_ieee_overflow 0
		.amdhsa_exception_fp_ieee_underflow 0
		.amdhsa_exception_fp_ieee_inexact 0
		.amdhsa_exception_int_div_zero 0
	.end_amdhsa_kernel
	.section	.text._Z16warp_load_kernelILj256ELj64ELj64ELN6hipcub17WarpLoadAlgorithmE2EdEvPT3_S3_,"axG",@progbits,_Z16warp_load_kernelILj256ELj64ELj64ELN6hipcub17WarpLoadAlgorithmE2EdEvPT3_S3_,comdat
.Lfunc_end72:
	.size	_Z16warp_load_kernelILj256ELj64ELj64ELN6hipcub17WarpLoadAlgorithmE2EdEvPT3_S3_, .Lfunc_end72-_Z16warp_load_kernelILj256ELj64ELj64ELN6hipcub17WarpLoadAlgorithmE2EdEvPT3_S3_
                                        ; -- End function
	.section	.AMDGPU.csdata,"",@progbits
; Kernel info:
; codeLenInByte = 2732
; NumSgprs: 11
; NumVgprs: 138
; NumAgprs: 0
; TotalNumVgprs: 138
; ScratchSize: 0
; MemoryBound: 1
; FloatMode: 240
; IeeeMode: 1
; LDSByteSize: 0 bytes/workgroup (compile time only)
; SGPRBlocks: 1
; VGPRBlocks: 17
; NumSGPRsForWavesPerEU: 11
; NumVGPRsForWavesPerEU: 138
; AccumOffset: 140
; Occupancy: 3
; WaveLimiterHint : 1
; COMPUTE_PGM_RSRC2:SCRATCH_EN: 0
; COMPUTE_PGM_RSRC2:USER_SGPR: 6
; COMPUTE_PGM_RSRC2:TRAP_HANDLER: 0
; COMPUTE_PGM_RSRC2:TGID_X_EN: 1
; COMPUTE_PGM_RSRC2:TGID_Y_EN: 0
; COMPUTE_PGM_RSRC2:TGID_Z_EN: 0
; COMPUTE_PGM_RSRC2:TIDIG_COMP_CNT: 0
; COMPUTE_PGM_RSRC3_GFX90A:ACCUM_OFFSET: 34
; COMPUTE_PGM_RSRC3_GFX90A:TG_SPLIT: 0
	.text
	.p2alignl 6, 3212836864
	.fill 256, 4, 3212836864
	.type	__hip_cuid_ff279bf286306334,@object ; @__hip_cuid_ff279bf286306334
	.section	.bss,"aw",@nobits
	.globl	__hip_cuid_ff279bf286306334
__hip_cuid_ff279bf286306334:
	.byte	0                               ; 0x0
	.size	__hip_cuid_ff279bf286306334, 1

	.ident	"AMD clang version 19.0.0git (https://github.com/RadeonOpenCompute/llvm-project roc-6.4.0 25133 c7fe45cf4b819c5991fe208aaa96edf142730f1d)"
	.section	".note.GNU-stack","",@progbits
	.addrsig
	.addrsig_sym __hip_cuid_ff279bf286306334
	.amdgpu_metadata
---
amdhsa.kernels:
  - .agpr_count:     0
    .args:
      - .address_space:  global
        .offset:         0
        .size:           8
        .value_kind:     global_buffer
      - .address_space:  global
        .offset:         8
        .size:           8
        .value_kind:     global_buffer
    .group_segment_fixed_size: 0
    .kernarg_segment_align: 8
    .kernarg_segment_size: 16
    .language:       OpenCL C
    .language_version:
      - 2
      - 0
    .max_flat_workgroup_size: 256
    .name:           _Z16warp_load_kernelILj256ELj4ELj32ELN6hipcub17WarpLoadAlgorithmE0EiEvPT3_S3_
    .private_segment_fixed_size: 0
    .sgpr_count:     11
    .sgpr_spill_count: 0
    .symbol:         _Z16warp_load_kernelILj256ELj4ELj32ELN6hipcub17WarpLoadAlgorithmE0EiEvPT3_S3_.kd
    .uniform_work_group_size: 1
    .uses_dynamic_stack: false
    .vgpr_count:     16
    .vgpr_spill_count: 0
    .wavefront_size: 64
  - .agpr_count:     0
    .args:
      - .address_space:  global
        .offset:         0
        .size:           8
        .value_kind:     global_buffer
      - .address_space:  global
        .offset:         8
        .size:           8
        .value_kind:     global_buffer
    .group_segment_fixed_size: 0
    .kernarg_segment_align: 8
    .kernarg_segment_size: 16
    .language:       OpenCL C
    .language_version:
      - 2
      - 0
    .max_flat_workgroup_size: 256
    .name:           _Z16warp_load_kernelILj256ELj4ELj32ELN6hipcub17WarpLoadAlgorithmE1EiEvPT3_S3_
    .private_segment_fixed_size: 0
    .sgpr_count:     11
    .sgpr_spill_count: 0
    .symbol:         _Z16warp_load_kernelILj256ELj4ELj32ELN6hipcub17WarpLoadAlgorithmE1EiEvPT3_S3_.kd
    .uniform_work_group_size: 1
    .uses_dynamic_stack: false
    .vgpr_count:     16
    .vgpr_spill_count: 0
    .wavefront_size: 64
  - .agpr_count:     0
    .args:
      - .address_space:  global
        .offset:         0
        .size:           8
        .value_kind:     global_buffer
      - .address_space:  global
        .offset:         8
        .size:           8
        .value_kind:     global_buffer
    .group_segment_fixed_size: 0
    .kernarg_segment_align: 8
    .kernarg_segment_size: 16
    .language:       OpenCL C
    .language_version:
      - 2
      - 0
    .max_flat_workgroup_size: 256
    .name:           _Z16warp_load_kernelILj256ELj4ELj32ELN6hipcub17WarpLoadAlgorithmE2EiEvPT3_S3_
    .private_segment_fixed_size: 0
    .sgpr_count:     11
    .sgpr_spill_count: 0
    .symbol:         _Z16warp_load_kernelILj256ELj4ELj32ELN6hipcub17WarpLoadAlgorithmE2EiEvPT3_S3_.kd
    .uniform_work_group_size: 1
    .uses_dynamic_stack: false
    .vgpr_count:     16
    .vgpr_spill_count: 0
    .wavefront_size: 64
  - .agpr_count:     0
    .args:
      - .address_space:  global
        .offset:         0
        .size:           8
        .value_kind:     global_buffer
      - .address_space:  global
        .offset:         8
        .size:           8
        .value_kind:     global_buffer
    .group_segment_fixed_size: 4096
    .kernarg_segment_align: 8
    .kernarg_segment_size: 16
    .language:       OpenCL C
    .language_version:
      - 2
      - 0
    .max_flat_workgroup_size: 256
    .name:           _Z16warp_load_kernelILj256ELj4ELj32ELN6hipcub17WarpLoadAlgorithmE3EiEvPT3_S3_
    .private_segment_fixed_size: 0
    .sgpr_count:     11
    .sgpr_spill_count: 0
    .symbol:         _Z16warp_load_kernelILj256ELj4ELj32ELN6hipcub17WarpLoadAlgorithmE3EiEvPT3_S3_.kd
    .uniform_work_group_size: 1
    .uses_dynamic_stack: false
    .vgpr_count:     20
    .vgpr_spill_count: 0
    .wavefront_size: 64
  - .agpr_count:     0
    .args:
      - .address_space:  global
        .offset:         0
        .size:           8
        .value_kind:     global_buffer
      - .address_space:  global
        .offset:         8
        .size:           8
        .value_kind:     global_buffer
    .group_segment_fixed_size: 0
    .kernarg_segment_align: 8
    .kernarg_segment_size: 16
    .language:       OpenCL C
    .language_version:
      - 2
      - 0
    .max_flat_workgroup_size: 256
    .name:           _Z16warp_load_kernelILj256ELj8ELj32ELN6hipcub17WarpLoadAlgorithmE0EiEvPT3_S3_
    .private_segment_fixed_size: 0
    .sgpr_count:     11
    .sgpr_spill_count: 0
    .symbol:         _Z16warp_load_kernelILj256ELj8ELj32ELN6hipcub17WarpLoadAlgorithmE0EiEvPT3_S3_.kd
    .uniform_work_group_size: 1
    .uses_dynamic_stack: false
    .vgpr_count:     23
    .vgpr_spill_count: 0
    .wavefront_size: 64
  - .agpr_count:     0
    .args:
      - .address_space:  global
        .offset:         0
        .size:           8
        .value_kind:     global_buffer
      - .address_space:  global
        .offset:         8
        .size:           8
        .value_kind:     global_buffer
    .group_segment_fixed_size: 0
    .kernarg_segment_align: 8
    .kernarg_segment_size: 16
    .language:       OpenCL C
    .language_version:
      - 2
      - 0
    .max_flat_workgroup_size: 256
    .name:           _Z16warp_load_kernelILj256ELj8ELj32ELN6hipcub17WarpLoadAlgorithmE1EiEvPT3_S3_
    .private_segment_fixed_size: 0
    .sgpr_count:     11
    .sgpr_spill_count: 0
    .symbol:         _Z16warp_load_kernelILj256ELj8ELj32ELN6hipcub17WarpLoadAlgorithmE1EiEvPT3_S3_.kd
    .uniform_work_group_size: 1
    .uses_dynamic_stack: false
    .vgpr_count:     23
    .vgpr_spill_count: 0
    .wavefront_size: 64
  - .agpr_count:     0
    .args:
      - .address_space:  global
        .offset:         0
        .size:           8
        .value_kind:     global_buffer
      - .address_space:  global
        .offset:         8
        .size:           8
        .value_kind:     global_buffer
    .group_segment_fixed_size: 0
    .kernarg_segment_align: 8
    .kernarg_segment_size: 16
    .language:       OpenCL C
    .language_version:
      - 2
      - 0
    .max_flat_workgroup_size: 256
    .name:           _Z16warp_load_kernelILj256ELj8ELj32ELN6hipcub17WarpLoadAlgorithmE2EiEvPT3_S3_
    .private_segment_fixed_size: 0
    .sgpr_count:     11
    .sgpr_spill_count: 0
    .symbol:         _Z16warp_load_kernelILj256ELj8ELj32ELN6hipcub17WarpLoadAlgorithmE2EiEvPT3_S3_.kd
    .uniform_work_group_size: 1
    .uses_dynamic_stack: false
    .vgpr_count:     23
    .vgpr_spill_count: 0
    .wavefront_size: 64
  - .agpr_count:     0
    .args:
      - .address_space:  global
        .offset:         0
        .size:           8
        .value_kind:     global_buffer
      - .address_space:  global
        .offset:         8
        .size:           8
        .value_kind:     global_buffer
    .group_segment_fixed_size: 8192
    .kernarg_segment_align: 8
    .kernarg_segment_size: 16
    .language:       OpenCL C
    .language_version:
      - 2
      - 0
    .max_flat_workgroup_size: 256
    .name:           _Z16warp_load_kernelILj256ELj8ELj32ELN6hipcub17WarpLoadAlgorithmE3EiEvPT3_S3_
    .private_segment_fixed_size: 0
    .sgpr_count:     11
    .sgpr_spill_count: 0
    .symbol:         _Z16warp_load_kernelILj256ELj8ELj32ELN6hipcub17WarpLoadAlgorithmE3EiEvPT3_S3_.kd
    .uniform_work_group_size: 1
    .uses_dynamic_stack: false
    .vgpr_count:     29
    .vgpr_spill_count: 0
    .wavefront_size: 64
  - .agpr_count:     0
    .args:
      - .address_space:  global
        .offset:         0
        .size:           8
        .value_kind:     global_buffer
      - .address_space:  global
        .offset:         8
        .size:           8
        .value_kind:     global_buffer
    .group_segment_fixed_size: 0
    .kernarg_segment_align: 8
    .kernarg_segment_size: 16
    .language:       OpenCL C
    .language_version:
      - 2
      - 0
    .max_flat_workgroup_size: 256
    .name:           _Z16warp_load_kernelILj256ELj16ELj32ELN6hipcub17WarpLoadAlgorithmE0EiEvPT3_S3_
    .private_segment_fixed_size: 0
    .sgpr_count:     11
    .sgpr_spill_count: 0
    .symbol:         _Z16warp_load_kernelILj256ELj16ELj32ELN6hipcub17WarpLoadAlgorithmE0EiEvPT3_S3_.kd
    .uniform_work_group_size: 1
    .uses_dynamic_stack: false
    .vgpr_count:     39
    .vgpr_spill_count: 0
    .wavefront_size: 64
  - .agpr_count:     0
    .args:
      - .address_space:  global
        .offset:         0
        .size:           8
        .value_kind:     global_buffer
      - .address_space:  global
        .offset:         8
        .size:           8
        .value_kind:     global_buffer
    .group_segment_fixed_size: 0
    .kernarg_segment_align: 8
    .kernarg_segment_size: 16
    .language:       OpenCL C
    .language_version:
      - 2
      - 0
    .max_flat_workgroup_size: 256
    .name:           _Z16warp_load_kernelILj256ELj16ELj32ELN6hipcub17WarpLoadAlgorithmE1EiEvPT3_S3_
    .private_segment_fixed_size: 0
    .sgpr_count:     11
    .sgpr_spill_count: 0
    .symbol:         _Z16warp_load_kernelILj256ELj16ELj32ELN6hipcub17WarpLoadAlgorithmE1EiEvPT3_S3_.kd
    .uniform_work_group_size: 1
    .uses_dynamic_stack: false
    .vgpr_count:     36
    .vgpr_spill_count: 0
    .wavefront_size: 64
  - .agpr_count:     0
    .args:
      - .address_space:  global
        .offset:         0
        .size:           8
        .value_kind:     global_buffer
      - .address_space:  global
        .offset:         8
        .size:           8
        .value_kind:     global_buffer
    .group_segment_fixed_size: 0
    .kernarg_segment_align: 8
    .kernarg_segment_size: 16
    .language:       OpenCL C
    .language_version:
      - 2
      - 0
    .max_flat_workgroup_size: 256
    .name:           _Z16warp_load_kernelILj256ELj16ELj32ELN6hipcub17WarpLoadAlgorithmE2EiEvPT3_S3_
    .private_segment_fixed_size: 0
    .sgpr_count:     11
    .sgpr_spill_count: 0
    .symbol:         _Z16warp_load_kernelILj256ELj16ELj32ELN6hipcub17WarpLoadAlgorithmE2EiEvPT3_S3_.kd
    .uniform_work_group_size: 1
    .uses_dynamic_stack: false
    .vgpr_count:     39
    .vgpr_spill_count: 0
    .wavefront_size: 64
  - .agpr_count:     0
    .args:
      - .address_space:  global
        .offset:         0
        .size:           8
        .value_kind:     global_buffer
      - .address_space:  global
        .offset:         8
        .size:           8
        .value_kind:     global_buffer
    .group_segment_fixed_size: 16384
    .kernarg_segment_align: 8
    .kernarg_segment_size: 16
    .language:       OpenCL C
    .language_version:
      - 2
      - 0
    .max_flat_workgroup_size: 256
    .name:           _Z16warp_load_kernelILj256ELj16ELj32ELN6hipcub17WarpLoadAlgorithmE3EiEvPT3_S3_
    .private_segment_fixed_size: 0
    .sgpr_count:     11
    .sgpr_spill_count: 0
    .symbol:         _Z16warp_load_kernelILj256ELj16ELj32ELN6hipcub17WarpLoadAlgorithmE3EiEvPT3_S3_.kd
    .uniform_work_group_size: 1
    .uses_dynamic_stack: false
    .vgpr_count:     39
    .vgpr_spill_count: 0
    .wavefront_size: 64
  - .agpr_count:     0
    .args:
      - .address_space:  global
        .offset:         0
        .size:           8
        .value_kind:     global_buffer
      - .address_space:  global
        .offset:         8
        .size:           8
        .value_kind:     global_buffer
    .group_segment_fixed_size: 0
    .kernarg_segment_align: 8
    .kernarg_segment_size: 16
    .language:       OpenCL C
    .language_version:
      - 2
      - 0
    .max_flat_workgroup_size: 256
    .name:           _Z16warp_load_kernelILj256ELj32ELj32ELN6hipcub17WarpLoadAlgorithmE0EiEvPT3_S3_
    .private_segment_fixed_size: 0
    .sgpr_count:     11
    .sgpr_spill_count: 0
    .symbol:         _Z16warp_load_kernelILj256ELj32ELj32ELN6hipcub17WarpLoadAlgorithmE0EiEvPT3_S3_.kd
    .uniform_work_group_size: 1
    .uses_dynamic_stack: false
    .vgpr_count:     50
    .vgpr_spill_count: 0
    .wavefront_size: 64
  - .agpr_count:     0
    .args:
      - .address_space:  global
        .offset:         0
        .size:           8
        .value_kind:     global_buffer
      - .address_space:  global
        .offset:         8
        .size:           8
        .value_kind:     global_buffer
    .group_segment_fixed_size: 0
    .kernarg_segment_align: 8
    .kernarg_segment_size: 16
    .language:       OpenCL C
    .language_version:
      - 2
      - 0
    .max_flat_workgroup_size: 256
    .name:           _Z16warp_load_kernelILj256ELj32ELj32ELN6hipcub17WarpLoadAlgorithmE1EiEvPT3_S3_
    .private_segment_fixed_size: 0
    .sgpr_count:     11
    .sgpr_spill_count: 0
    .symbol:         _Z16warp_load_kernelILj256ELj32ELj32ELN6hipcub17WarpLoadAlgorithmE1EiEvPT3_S3_.kd
    .uniform_work_group_size: 1
    .uses_dynamic_stack: false
    .vgpr_count:     45
    .vgpr_spill_count: 0
    .wavefront_size: 64
  - .agpr_count:     0
    .args:
      - .address_space:  global
        .offset:         0
        .size:           8
        .value_kind:     global_buffer
      - .address_space:  global
        .offset:         8
        .size:           8
        .value_kind:     global_buffer
    .group_segment_fixed_size: 0
    .kernarg_segment_align: 8
    .kernarg_segment_size: 16
    .language:       OpenCL C
    .language_version:
      - 2
      - 0
    .max_flat_workgroup_size: 256
    .name:           _Z16warp_load_kernelILj256ELj32ELj32ELN6hipcub17WarpLoadAlgorithmE2EiEvPT3_S3_
    .private_segment_fixed_size: 0
    .sgpr_count:     11
    .sgpr_spill_count: 0
    .symbol:         _Z16warp_load_kernelILj256ELj32ELj32ELN6hipcub17WarpLoadAlgorithmE2EiEvPT3_S3_.kd
    .uniform_work_group_size: 1
    .uses_dynamic_stack: false
    .vgpr_count:     50
    .vgpr_spill_count: 0
    .wavefront_size: 64
  - .agpr_count:     0
    .args:
      - .address_space:  global
        .offset:         0
        .size:           8
        .value_kind:     global_buffer
      - .address_space:  global
        .offset:         8
        .size:           8
        .value_kind:     global_buffer
    .group_segment_fixed_size: 32768
    .kernarg_segment_align: 8
    .kernarg_segment_size: 16
    .language:       OpenCL C
    .language_version:
      - 2
      - 0
    .max_flat_workgroup_size: 256
    .name:           _Z16warp_load_kernelILj256ELj32ELj32ELN6hipcub17WarpLoadAlgorithmE3EiEvPT3_S3_
    .private_segment_fixed_size: 0
    .sgpr_count:     11
    .sgpr_spill_count: 0
    .symbol:         _Z16warp_load_kernelILj256ELj32ELj32ELN6hipcub17WarpLoadAlgorithmE3EiEvPT3_S3_.kd
    .uniform_work_group_size: 1
    .uses_dynamic_stack: false
    .vgpr_count:     44
    .vgpr_spill_count: 0
    .wavefront_size: 64
  - .agpr_count:     0
    .args:
      - .address_space:  global
        .offset:         0
        .size:           8
        .value_kind:     global_buffer
      - .address_space:  global
        .offset:         8
        .size:           8
        .value_kind:     global_buffer
    .group_segment_fixed_size: 0
    .kernarg_segment_align: 8
    .kernarg_segment_size: 16
    .language:       OpenCL C
    .language_version:
      - 2
      - 0
    .max_flat_workgroup_size: 256
    .name:           _Z16warp_load_kernelILj256ELj64ELj32ELN6hipcub17WarpLoadAlgorithmE0EiEvPT3_S3_
    .private_segment_fixed_size: 0
    .sgpr_count:     11
    .sgpr_spill_count: 0
    .symbol:         _Z16warp_load_kernelILj256ELj64ELj32ELN6hipcub17WarpLoadAlgorithmE0EiEvPT3_S3_.kd
    .uniform_work_group_size: 1
    .uses_dynamic_stack: false
    .vgpr_count:     71
    .vgpr_spill_count: 0
    .wavefront_size: 64
  - .agpr_count:     0
    .args:
      - .address_space:  global
        .offset:         0
        .size:           8
        .value_kind:     global_buffer
      - .address_space:  global
        .offset:         8
        .size:           8
        .value_kind:     global_buffer
    .group_segment_fixed_size: 0
    .kernarg_segment_align: 8
    .kernarg_segment_size: 16
    .language:       OpenCL C
    .language_version:
      - 2
      - 0
    .max_flat_workgroup_size: 256
    .name:           _Z16warp_load_kernelILj256ELj64ELj32ELN6hipcub17WarpLoadAlgorithmE1EiEvPT3_S3_
    .private_segment_fixed_size: 0
    .sgpr_count:     11
    .sgpr_spill_count: 0
    .symbol:         _Z16warp_load_kernelILj256ELj64ELj32ELN6hipcub17WarpLoadAlgorithmE1EiEvPT3_S3_.kd
    .uniform_work_group_size: 1
    .uses_dynamic_stack: false
    .vgpr_count:     70
    .vgpr_spill_count: 0
    .wavefront_size: 64
  - .agpr_count:     0
    .args:
      - .address_space:  global
        .offset:         0
        .size:           8
        .value_kind:     global_buffer
      - .address_space:  global
        .offset:         8
        .size:           8
        .value_kind:     global_buffer
    .group_segment_fixed_size: 0
    .kernarg_segment_align: 8
    .kernarg_segment_size: 16
    .language:       OpenCL C
    .language_version:
      - 2
      - 0
    .max_flat_workgroup_size: 256
    .name:           _Z16warp_load_kernelILj256ELj64ELj32ELN6hipcub17WarpLoadAlgorithmE2EiEvPT3_S3_
    .private_segment_fixed_size: 0
    .sgpr_count:     11
    .sgpr_spill_count: 0
    .symbol:         _Z16warp_load_kernelILj256ELj64ELj32ELN6hipcub17WarpLoadAlgorithmE2EiEvPT3_S3_.kd
    .uniform_work_group_size: 1
    .uses_dynamic_stack: false
    .vgpr_count:     71
    .vgpr_spill_count: 0
    .wavefront_size: 64
  - .agpr_count:     0
    .args:
      - .address_space:  global
        .offset:         0
        .size:           8
        .value_kind:     global_buffer
      - .address_space:  global
        .offset:         8
        .size:           8
        .value_kind:     global_buffer
    .group_segment_fixed_size: 0
    .kernarg_segment_align: 8
    .kernarg_segment_size: 16
    .language:       OpenCL C
    .language_version:
      - 2
      - 0
    .max_flat_workgroup_size: 256
    .name:           _Z16warp_load_kernelILj256ELj4ELj32ELN6hipcub17WarpLoadAlgorithmE0EdEvPT3_S3_
    .private_segment_fixed_size: 0
    .sgpr_count:     11
    .sgpr_spill_count: 0
    .symbol:         _Z16warp_load_kernelILj256ELj4ELj32ELN6hipcub17WarpLoadAlgorithmE0EdEvPT3_S3_.kd
    .uniform_work_group_size: 1
    .uses_dynamic_stack: false
    .vgpr_count:     20
    .vgpr_spill_count: 0
    .wavefront_size: 64
  - .agpr_count:     0
    .args:
      - .address_space:  global
        .offset:         0
        .size:           8
        .value_kind:     global_buffer
      - .address_space:  global
        .offset:         8
        .size:           8
        .value_kind:     global_buffer
    .group_segment_fixed_size: 0
    .kernarg_segment_align: 8
    .kernarg_segment_size: 16
    .language:       OpenCL C
    .language_version:
      - 2
      - 0
    .max_flat_workgroup_size: 256
    .name:           _Z16warp_load_kernelILj256ELj4ELj32ELN6hipcub17WarpLoadAlgorithmE1EdEvPT3_S3_
    .private_segment_fixed_size: 0
    .sgpr_count:     11
    .sgpr_spill_count: 0
    .symbol:         _Z16warp_load_kernelILj256ELj4ELj32ELN6hipcub17WarpLoadAlgorithmE1EdEvPT3_S3_.kd
    .uniform_work_group_size: 1
    .uses_dynamic_stack: false
    .vgpr_count:     20
    .vgpr_spill_count: 0
    .wavefront_size: 64
  - .agpr_count:     0
    .args:
      - .address_space:  global
        .offset:         0
        .size:           8
        .value_kind:     global_buffer
      - .address_space:  global
        .offset:         8
        .size:           8
        .value_kind:     global_buffer
    .group_segment_fixed_size: 0
    .kernarg_segment_align: 8
    .kernarg_segment_size: 16
    .language:       OpenCL C
    .language_version:
      - 2
      - 0
    .max_flat_workgroup_size: 256
    .name:           _Z16warp_load_kernelILj256ELj4ELj32ELN6hipcub17WarpLoadAlgorithmE2EdEvPT3_S3_
    .private_segment_fixed_size: 0
    .sgpr_count:     11
    .sgpr_spill_count: 0
    .symbol:         _Z16warp_load_kernelILj256ELj4ELj32ELN6hipcub17WarpLoadAlgorithmE2EdEvPT3_S3_.kd
    .uniform_work_group_size: 1
    .uses_dynamic_stack: false
    .vgpr_count:     20
    .vgpr_spill_count: 0
    .wavefront_size: 64
  - .agpr_count:     0
    .args:
      - .address_space:  global
        .offset:         0
        .size:           8
        .value_kind:     global_buffer
      - .address_space:  global
        .offset:         8
        .size:           8
        .value_kind:     global_buffer
    .group_segment_fixed_size: 8192
    .kernarg_segment_align: 8
    .kernarg_segment_size: 16
    .language:       OpenCL C
    .language_version:
      - 2
      - 0
    .max_flat_workgroup_size: 256
    .name:           _Z16warp_load_kernelILj256ELj4ELj32ELN6hipcub17WarpLoadAlgorithmE3EdEvPT3_S3_
    .private_segment_fixed_size: 0
    .sgpr_count:     11
    .sgpr_spill_count: 0
    .symbol:         _Z16warp_load_kernelILj256ELj4ELj32ELN6hipcub17WarpLoadAlgorithmE3EdEvPT3_S3_.kd
    .uniform_work_group_size: 1
    .uses_dynamic_stack: false
    .vgpr_count:     25
    .vgpr_spill_count: 0
    .wavefront_size: 64
  - .agpr_count:     0
    .args:
      - .address_space:  global
        .offset:         0
        .size:           8
        .value_kind:     global_buffer
      - .address_space:  global
        .offset:         8
        .size:           8
        .value_kind:     global_buffer
    .group_segment_fixed_size: 0
    .kernarg_segment_align: 8
    .kernarg_segment_size: 16
    .language:       OpenCL C
    .language_version:
      - 2
      - 0
    .max_flat_workgroup_size: 256
    .name:           _Z16warp_load_kernelILj256ELj8ELj32ELN6hipcub17WarpLoadAlgorithmE0EdEvPT3_S3_
    .private_segment_fixed_size: 0
    .sgpr_count:     11
    .sgpr_spill_count: 0
    .symbol:         _Z16warp_load_kernelILj256ELj8ELj32ELN6hipcub17WarpLoadAlgorithmE0EdEvPT3_S3_.kd
    .uniform_work_group_size: 1
    .uses_dynamic_stack: false
    .vgpr_count:     37
    .vgpr_spill_count: 0
    .wavefront_size: 64
  - .agpr_count:     0
    .args:
      - .address_space:  global
        .offset:         0
        .size:           8
        .value_kind:     global_buffer
      - .address_space:  global
        .offset:         8
        .size:           8
        .value_kind:     global_buffer
    .group_segment_fixed_size: 0
    .kernarg_segment_align: 8
    .kernarg_segment_size: 16
    .language:       OpenCL C
    .language_version:
      - 2
      - 0
    .max_flat_workgroup_size: 256
    .name:           _Z16warp_load_kernelILj256ELj8ELj32ELN6hipcub17WarpLoadAlgorithmE1EdEvPT3_S3_
    .private_segment_fixed_size: 0
    .sgpr_count:     11
    .sgpr_spill_count: 0
    .symbol:         _Z16warp_load_kernelILj256ELj8ELj32ELN6hipcub17WarpLoadAlgorithmE1EdEvPT3_S3_.kd
    .uniform_work_group_size: 1
    .uses_dynamic_stack: false
    .vgpr_count:     37
    .vgpr_spill_count: 0
    .wavefront_size: 64
  - .agpr_count:     0
    .args:
      - .address_space:  global
        .offset:         0
        .size:           8
        .value_kind:     global_buffer
      - .address_space:  global
        .offset:         8
        .size:           8
        .value_kind:     global_buffer
    .group_segment_fixed_size: 0
    .kernarg_segment_align: 8
    .kernarg_segment_size: 16
    .language:       OpenCL C
    .language_version:
      - 2
      - 0
    .max_flat_workgroup_size: 256
    .name:           _Z16warp_load_kernelILj256ELj8ELj32ELN6hipcub17WarpLoadAlgorithmE2EdEvPT3_S3_
    .private_segment_fixed_size: 0
    .sgpr_count:     11
    .sgpr_spill_count: 0
    .symbol:         _Z16warp_load_kernelILj256ELj8ELj32ELN6hipcub17WarpLoadAlgorithmE2EdEvPT3_S3_.kd
    .uniform_work_group_size: 1
    .uses_dynamic_stack: false
    .vgpr_count:     37
    .vgpr_spill_count: 0
    .wavefront_size: 64
  - .agpr_count:     0
    .args:
      - .address_space:  global
        .offset:         0
        .size:           8
        .value_kind:     global_buffer
      - .address_space:  global
        .offset:         8
        .size:           8
        .value_kind:     global_buffer
    .group_segment_fixed_size: 16384
    .kernarg_segment_align: 8
    .kernarg_segment_size: 16
    .language:       OpenCL C
    .language_version:
      - 2
      - 0
    .max_flat_workgroup_size: 256
    .name:           _Z16warp_load_kernelILj256ELj8ELj32ELN6hipcub17WarpLoadAlgorithmE3EdEvPT3_S3_
    .private_segment_fixed_size: 0
    .sgpr_count:     11
    .sgpr_spill_count: 0
    .symbol:         _Z16warp_load_kernelILj256ELj8ELj32ELN6hipcub17WarpLoadAlgorithmE3EdEvPT3_S3_.kd
    .uniform_work_group_size: 1
    .uses_dynamic_stack: false
    .vgpr_count:     39
    .vgpr_spill_count: 0
    .wavefront_size: 64
  - .agpr_count:     0
    .args:
      - .address_space:  global
        .offset:         0
        .size:           8
        .value_kind:     global_buffer
      - .address_space:  global
        .offset:         8
        .size:           8
        .value_kind:     global_buffer
    .group_segment_fixed_size: 0
    .kernarg_segment_align: 8
    .kernarg_segment_size: 16
    .language:       OpenCL C
    .language_version:
      - 2
      - 0
    .max_flat_workgroup_size: 256
    .name:           _Z16warp_load_kernelILj256ELj16ELj32ELN6hipcub17WarpLoadAlgorithmE0EdEvPT3_S3_
    .private_segment_fixed_size: 0
    .sgpr_count:     11
    .sgpr_spill_count: 0
    .symbol:         _Z16warp_load_kernelILj256ELj16ELj32ELN6hipcub17WarpLoadAlgorithmE0EdEvPT3_S3_.kd
    .uniform_work_group_size: 1
    .uses_dynamic_stack: false
    .vgpr_count:     57
    .vgpr_spill_count: 0
    .wavefront_size: 64
  - .agpr_count:     0
    .args:
      - .address_space:  global
        .offset:         0
        .size:           8
        .value_kind:     global_buffer
      - .address_space:  global
        .offset:         8
        .size:           8
        .value_kind:     global_buffer
    .group_segment_fixed_size: 0
    .kernarg_segment_align: 8
    .kernarg_segment_size: 16
    .language:       OpenCL C
    .language_version:
      - 2
      - 0
    .max_flat_workgroup_size: 256
    .name:           _Z16warp_load_kernelILj256ELj16ELj32ELN6hipcub17WarpLoadAlgorithmE1EdEvPT3_S3_
    .private_segment_fixed_size: 0
    .sgpr_count:     11
    .sgpr_spill_count: 0
    .symbol:         _Z16warp_load_kernelILj256ELj16ELj32ELN6hipcub17WarpLoadAlgorithmE1EdEvPT3_S3_.kd
    .uniform_work_group_size: 1
    .uses_dynamic_stack: false
    .vgpr_count:     49
    .vgpr_spill_count: 0
    .wavefront_size: 64
  - .agpr_count:     0
    .args:
      - .address_space:  global
        .offset:         0
        .size:           8
        .value_kind:     global_buffer
      - .address_space:  global
        .offset:         8
        .size:           8
        .value_kind:     global_buffer
    .group_segment_fixed_size: 0
    .kernarg_segment_align: 8
    .kernarg_segment_size: 16
    .language:       OpenCL C
    .language_version:
      - 2
      - 0
    .max_flat_workgroup_size: 256
    .name:           _Z16warp_load_kernelILj256ELj16ELj32ELN6hipcub17WarpLoadAlgorithmE2EdEvPT3_S3_
    .private_segment_fixed_size: 0
    .sgpr_count:     11
    .sgpr_spill_count: 0
    .symbol:         _Z16warp_load_kernelILj256ELj16ELj32ELN6hipcub17WarpLoadAlgorithmE2EdEvPT3_S3_.kd
    .uniform_work_group_size: 1
    .uses_dynamic_stack: false
    .vgpr_count:     57
    .vgpr_spill_count: 0
    .wavefront_size: 64
  - .agpr_count:     0
    .args:
      - .address_space:  global
        .offset:         0
        .size:           8
        .value_kind:     global_buffer
      - .address_space:  global
        .offset:         8
        .size:           8
        .value_kind:     global_buffer
    .group_segment_fixed_size: 32768
    .kernarg_segment_align: 8
    .kernarg_segment_size: 16
    .language:       OpenCL C
    .language_version:
      - 2
      - 0
    .max_flat_workgroup_size: 256
    .name:           _Z16warp_load_kernelILj256ELj16ELj32ELN6hipcub17WarpLoadAlgorithmE3EdEvPT3_S3_
    .private_segment_fixed_size: 0
    .sgpr_count:     11
    .sgpr_spill_count: 0
    .symbol:         _Z16warp_load_kernelILj256ELj16ELj32ELN6hipcub17WarpLoadAlgorithmE3EdEvPT3_S3_.kd
    .uniform_work_group_size: 1
    .uses_dynamic_stack: false
    .vgpr_count:     49
    .vgpr_spill_count: 0
    .wavefront_size: 64
  - .agpr_count:     0
    .args:
      - .address_space:  global
        .offset:         0
        .size:           8
        .value_kind:     global_buffer
      - .address_space:  global
        .offset:         8
        .size:           8
        .value_kind:     global_buffer
    .group_segment_fixed_size: 0
    .kernarg_segment_align: 8
    .kernarg_segment_size: 16
    .language:       OpenCL C
    .language_version:
      - 2
      - 0
    .max_flat_workgroup_size: 256
    .name:           _Z16warp_load_kernelILj256ELj32ELj32ELN6hipcub17WarpLoadAlgorithmE0EdEvPT3_S3_
    .private_segment_fixed_size: 0
    .sgpr_count:     11
    .sgpr_spill_count: 0
    .symbol:         _Z16warp_load_kernelILj256ELj32ELj32ELN6hipcub17WarpLoadAlgorithmE0EdEvPT3_S3_.kd
    .uniform_work_group_size: 1
    .uses_dynamic_stack: false
    .vgpr_count:     81
    .vgpr_spill_count: 0
    .wavefront_size: 64
  - .agpr_count:     0
    .args:
      - .address_space:  global
        .offset:         0
        .size:           8
        .value_kind:     global_buffer
      - .address_space:  global
        .offset:         8
        .size:           8
        .value_kind:     global_buffer
    .group_segment_fixed_size: 0
    .kernarg_segment_align: 8
    .kernarg_segment_size: 16
    .language:       OpenCL C
    .language_version:
      - 2
      - 0
    .max_flat_workgroup_size: 256
    .name:           _Z16warp_load_kernelILj256ELj32ELj32ELN6hipcub17WarpLoadAlgorithmE1EdEvPT3_S3_
    .private_segment_fixed_size: 0
    .sgpr_count:     11
    .sgpr_spill_count: 0
    .symbol:         _Z16warp_load_kernelILj256ELj32ELj32ELN6hipcub17WarpLoadAlgorithmE1EdEvPT3_S3_.kd
    .uniform_work_group_size: 1
    .uses_dynamic_stack: false
    .vgpr_count:     70
    .vgpr_spill_count: 0
    .wavefront_size: 64
  - .agpr_count:     0
    .args:
      - .address_space:  global
        .offset:         0
        .size:           8
        .value_kind:     global_buffer
      - .address_space:  global
        .offset:         8
        .size:           8
        .value_kind:     global_buffer
    .group_segment_fixed_size: 0
    .kernarg_segment_align: 8
    .kernarg_segment_size: 16
    .language:       OpenCL C
    .language_version:
      - 2
      - 0
    .max_flat_workgroup_size: 256
    .name:           _Z16warp_load_kernelILj256ELj32ELj32ELN6hipcub17WarpLoadAlgorithmE2EdEvPT3_S3_
    .private_segment_fixed_size: 0
    .sgpr_count:     11
    .sgpr_spill_count: 0
    .symbol:         _Z16warp_load_kernelILj256ELj32ELj32ELN6hipcub17WarpLoadAlgorithmE2EdEvPT3_S3_.kd
    .uniform_work_group_size: 1
    .uses_dynamic_stack: false
    .vgpr_count:     81
    .vgpr_spill_count: 0
    .wavefront_size: 64
  - .agpr_count:     0
    .args:
      - .address_space:  global
        .offset:         0
        .size:           8
        .value_kind:     global_buffer
      - .address_space:  global
        .offset:         8
        .size:           8
        .value_kind:     global_buffer
    .group_segment_fixed_size: 0
    .kernarg_segment_align: 8
    .kernarg_segment_size: 16
    .language:       OpenCL C
    .language_version:
      - 2
      - 0
    .max_flat_workgroup_size: 256
    .name:           _Z16warp_load_kernelILj256ELj64ELj32ELN6hipcub17WarpLoadAlgorithmE0EdEvPT3_S3_
    .private_segment_fixed_size: 0
    .sgpr_count:     11
    .sgpr_spill_count: 0
    .symbol:         _Z16warp_load_kernelILj256ELj64ELj32ELN6hipcub17WarpLoadAlgorithmE0EdEvPT3_S3_.kd
    .uniform_work_group_size: 1
    .uses_dynamic_stack: false
    .vgpr_count:     138
    .vgpr_spill_count: 0
    .wavefront_size: 64
  - .agpr_count:     0
    .args:
      - .address_space:  global
        .offset:         0
        .size:           8
        .value_kind:     global_buffer
      - .address_space:  global
        .offset:         8
        .size:           8
        .value_kind:     global_buffer
    .group_segment_fixed_size: 0
    .kernarg_segment_align: 8
    .kernarg_segment_size: 16
    .language:       OpenCL C
    .language_version:
      - 2
      - 0
    .max_flat_workgroup_size: 256
    .name:           _Z16warp_load_kernelILj256ELj64ELj32ELN6hipcub17WarpLoadAlgorithmE1EdEvPT3_S3_
    .private_segment_fixed_size: 0
    .sgpr_count:     11
    .sgpr_spill_count: 0
    .symbol:         _Z16warp_load_kernelILj256ELj64ELj32ELN6hipcub17WarpLoadAlgorithmE1EdEvPT3_S3_.kd
    .uniform_work_group_size: 1
    .uses_dynamic_stack: false
    .vgpr_count:     134
    .vgpr_spill_count: 0
    .wavefront_size: 64
  - .agpr_count:     0
    .args:
      - .address_space:  global
        .offset:         0
        .size:           8
        .value_kind:     global_buffer
      - .address_space:  global
        .offset:         8
        .size:           8
        .value_kind:     global_buffer
    .group_segment_fixed_size: 0
    .kernarg_segment_align: 8
    .kernarg_segment_size: 16
    .language:       OpenCL C
    .language_version:
      - 2
      - 0
    .max_flat_workgroup_size: 256
    .name:           _Z16warp_load_kernelILj256ELj64ELj32ELN6hipcub17WarpLoadAlgorithmE2EdEvPT3_S3_
    .private_segment_fixed_size: 0
    .sgpr_count:     11
    .sgpr_spill_count: 0
    .symbol:         _Z16warp_load_kernelILj256ELj64ELj32ELN6hipcub17WarpLoadAlgorithmE2EdEvPT3_S3_.kd
    .uniform_work_group_size: 1
    .uses_dynamic_stack: false
    .vgpr_count:     138
    .vgpr_spill_count: 0
    .wavefront_size: 64
  - .agpr_count:     0
    .args:
      - .address_space:  global
        .offset:         0
        .size:           8
        .value_kind:     global_buffer
      - .address_space:  global
        .offset:         8
        .size:           8
        .value_kind:     global_buffer
    .group_segment_fixed_size: 0
    .kernarg_segment_align: 8
    .kernarg_segment_size: 16
    .language:       OpenCL C
    .language_version:
      - 2
      - 0
    .max_flat_workgroup_size: 256
    .name:           _Z16warp_load_kernelILj256ELj4ELj64ELN6hipcub17WarpLoadAlgorithmE0EiEvPT3_S3_
    .private_segment_fixed_size: 0
    .sgpr_count:     11
    .sgpr_spill_count: 0
    .symbol:         _Z16warp_load_kernelILj256ELj4ELj64ELN6hipcub17WarpLoadAlgorithmE0EiEvPT3_S3_.kd
    .uniform_work_group_size: 1
    .uses_dynamic_stack: false
    .vgpr_count:     16
    .vgpr_spill_count: 0
    .wavefront_size: 64
  - .agpr_count:     0
    .args:
      - .address_space:  global
        .offset:         0
        .size:           8
        .value_kind:     global_buffer
      - .address_space:  global
        .offset:         8
        .size:           8
        .value_kind:     global_buffer
    .group_segment_fixed_size: 0
    .kernarg_segment_align: 8
    .kernarg_segment_size: 16
    .language:       OpenCL C
    .language_version:
      - 2
      - 0
    .max_flat_workgroup_size: 256
    .name:           _Z16warp_load_kernelILj256ELj4ELj64ELN6hipcub17WarpLoadAlgorithmE1EiEvPT3_S3_
    .private_segment_fixed_size: 0
    .sgpr_count:     11
    .sgpr_spill_count: 0
    .symbol:         _Z16warp_load_kernelILj256ELj4ELj64ELN6hipcub17WarpLoadAlgorithmE1EiEvPT3_S3_.kd
    .uniform_work_group_size: 1
    .uses_dynamic_stack: false
    .vgpr_count:     16
    .vgpr_spill_count: 0
    .wavefront_size: 64
  - .agpr_count:     0
    .args:
      - .address_space:  global
        .offset:         0
        .size:           8
        .value_kind:     global_buffer
      - .address_space:  global
        .offset:         8
        .size:           8
        .value_kind:     global_buffer
    .group_segment_fixed_size: 0
    .kernarg_segment_align: 8
    .kernarg_segment_size: 16
    .language:       OpenCL C
    .language_version:
      - 2
      - 0
    .max_flat_workgroup_size: 256
    .name:           _Z16warp_load_kernelILj256ELj4ELj64ELN6hipcub17WarpLoadAlgorithmE2EiEvPT3_S3_
    .private_segment_fixed_size: 0
    .sgpr_count:     11
    .sgpr_spill_count: 0
    .symbol:         _Z16warp_load_kernelILj256ELj4ELj64ELN6hipcub17WarpLoadAlgorithmE2EiEvPT3_S3_.kd
    .uniform_work_group_size: 1
    .uses_dynamic_stack: false
    .vgpr_count:     16
    .vgpr_spill_count: 0
    .wavefront_size: 64
  - .agpr_count:     0
    .args:
      - .address_space:  global
        .offset:         0
        .size:           8
        .value_kind:     global_buffer
      - .address_space:  global
        .offset:         8
        .size:           8
        .value_kind:     global_buffer
    .group_segment_fixed_size: 4096
    .kernarg_segment_align: 8
    .kernarg_segment_size: 16
    .language:       OpenCL C
    .language_version:
      - 2
      - 0
    .max_flat_workgroup_size: 256
    .name:           _Z16warp_load_kernelILj256ELj4ELj64ELN6hipcub17WarpLoadAlgorithmE3EiEvPT3_S3_
    .private_segment_fixed_size: 0
    .sgpr_count:     11
    .sgpr_spill_count: 0
    .symbol:         _Z16warp_load_kernelILj256ELj4ELj64ELN6hipcub17WarpLoadAlgorithmE3EiEvPT3_S3_.kd
    .uniform_work_group_size: 1
    .uses_dynamic_stack: false
    .vgpr_count:     20
    .vgpr_spill_count: 0
    .wavefront_size: 64
  - .agpr_count:     0
    .args:
      - .address_space:  global
        .offset:         0
        .size:           8
        .value_kind:     global_buffer
      - .address_space:  global
        .offset:         8
        .size:           8
        .value_kind:     global_buffer
    .group_segment_fixed_size: 0
    .kernarg_segment_align: 8
    .kernarg_segment_size: 16
    .language:       OpenCL C
    .language_version:
      - 2
      - 0
    .max_flat_workgroup_size: 256
    .name:           _Z16warp_load_kernelILj256ELj8ELj64ELN6hipcub17WarpLoadAlgorithmE0EiEvPT3_S3_
    .private_segment_fixed_size: 0
    .sgpr_count:     11
    .sgpr_spill_count: 0
    .symbol:         _Z16warp_load_kernelILj256ELj8ELj64ELN6hipcub17WarpLoadAlgorithmE0EiEvPT3_S3_.kd
    .uniform_work_group_size: 1
    .uses_dynamic_stack: false
    .vgpr_count:     23
    .vgpr_spill_count: 0
    .wavefront_size: 64
  - .agpr_count:     0
    .args:
      - .address_space:  global
        .offset:         0
        .size:           8
        .value_kind:     global_buffer
      - .address_space:  global
        .offset:         8
        .size:           8
        .value_kind:     global_buffer
    .group_segment_fixed_size: 0
    .kernarg_segment_align: 8
    .kernarg_segment_size: 16
    .language:       OpenCL C
    .language_version:
      - 2
      - 0
    .max_flat_workgroup_size: 256
    .name:           _Z16warp_load_kernelILj256ELj8ELj64ELN6hipcub17WarpLoadAlgorithmE1EiEvPT3_S3_
    .private_segment_fixed_size: 0
    .sgpr_count:     11
    .sgpr_spill_count: 0
    .symbol:         _Z16warp_load_kernelILj256ELj8ELj64ELN6hipcub17WarpLoadAlgorithmE1EiEvPT3_S3_.kd
    .uniform_work_group_size: 1
    .uses_dynamic_stack: false
    .vgpr_count:     23
    .vgpr_spill_count: 0
    .wavefront_size: 64
  - .agpr_count:     0
    .args:
      - .address_space:  global
        .offset:         0
        .size:           8
        .value_kind:     global_buffer
      - .address_space:  global
        .offset:         8
        .size:           8
        .value_kind:     global_buffer
    .group_segment_fixed_size: 0
    .kernarg_segment_align: 8
    .kernarg_segment_size: 16
    .language:       OpenCL C
    .language_version:
      - 2
      - 0
    .max_flat_workgroup_size: 256
    .name:           _Z16warp_load_kernelILj256ELj8ELj64ELN6hipcub17WarpLoadAlgorithmE2EiEvPT3_S3_
    .private_segment_fixed_size: 0
    .sgpr_count:     11
    .sgpr_spill_count: 0
    .symbol:         _Z16warp_load_kernelILj256ELj8ELj64ELN6hipcub17WarpLoadAlgorithmE2EiEvPT3_S3_.kd
    .uniform_work_group_size: 1
    .uses_dynamic_stack: false
    .vgpr_count:     23
    .vgpr_spill_count: 0
    .wavefront_size: 64
  - .agpr_count:     0
    .args:
      - .address_space:  global
        .offset:         0
        .size:           8
        .value_kind:     global_buffer
      - .address_space:  global
        .offset:         8
        .size:           8
        .value_kind:     global_buffer
    .group_segment_fixed_size: 8192
    .kernarg_segment_align: 8
    .kernarg_segment_size: 16
    .language:       OpenCL C
    .language_version:
      - 2
      - 0
    .max_flat_workgroup_size: 256
    .name:           _Z16warp_load_kernelILj256ELj8ELj64ELN6hipcub17WarpLoadAlgorithmE3EiEvPT3_S3_
    .private_segment_fixed_size: 0
    .sgpr_count:     11
    .sgpr_spill_count: 0
    .symbol:         _Z16warp_load_kernelILj256ELj8ELj64ELN6hipcub17WarpLoadAlgorithmE3EiEvPT3_S3_.kd
    .uniform_work_group_size: 1
    .uses_dynamic_stack: false
    .vgpr_count:     29
    .vgpr_spill_count: 0
    .wavefront_size: 64
  - .agpr_count:     0
    .args:
      - .address_space:  global
        .offset:         0
        .size:           8
        .value_kind:     global_buffer
      - .address_space:  global
        .offset:         8
        .size:           8
        .value_kind:     global_buffer
    .group_segment_fixed_size: 0
    .kernarg_segment_align: 8
    .kernarg_segment_size: 16
    .language:       OpenCL C
    .language_version:
      - 2
      - 0
    .max_flat_workgroup_size: 256
    .name:           _Z16warp_load_kernelILj256ELj16ELj64ELN6hipcub17WarpLoadAlgorithmE0EiEvPT3_S3_
    .private_segment_fixed_size: 0
    .sgpr_count:     11
    .sgpr_spill_count: 0
    .symbol:         _Z16warp_load_kernelILj256ELj16ELj64ELN6hipcub17WarpLoadAlgorithmE0EiEvPT3_S3_.kd
    .uniform_work_group_size: 1
    .uses_dynamic_stack: false
    .vgpr_count:     39
    .vgpr_spill_count: 0
    .wavefront_size: 64
  - .agpr_count:     0
    .args:
      - .address_space:  global
        .offset:         0
        .size:           8
        .value_kind:     global_buffer
      - .address_space:  global
        .offset:         8
        .size:           8
        .value_kind:     global_buffer
    .group_segment_fixed_size: 0
    .kernarg_segment_align: 8
    .kernarg_segment_size: 16
    .language:       OpenCL C
    .language_version:
      - 2
      - 0
    .max_flat_workgroup_size: 256
    .name:           _Z16warp_load_kernelILj256ELj16ELj64ELN6hipcub17WarpLoadAlgorithmE1EiEvPT3_S3_
    .private_segment_fixed_size: 0
    .sgpr_count:     11
    .sgpr_spill_count: 0
    .symbol:         _Z16warp_load_kernelILj256ELj16ELj64ELN6hipcub17WarpLoadAlgorithmE1EiEvPT3_S3_.kd
    .uniform_work_group_size: 1
    .uses_dynamic_stack: false
    .vgpr_count:     32
    .vgpr_spill_count: 0
    .wavefront_size: 64
  - .agpr_count:     0
    .args:
      - .address_space:  global
        .offset:         0
        .size:           8
        .value_kind:     global_buffer
      - .address_space:  global
        .offset:         8
        .size:           8
        .value_kind:     global_buffer
    .group_segment_fixed_size: 0
    .kernarg_segment_align: 8
    .kernarg_segment_size: 16
    .language:       OpenCL C
    .language_version:
      - 2
      - 0
    .max_flat_workgroup_size: 256
    .name:           _Z16warp_load_kernelILj256ELj16ELj64ELN6hipcub17WarpLoadAlgorithmE2EiEvPT3_S3_
    .private_segment_fixed_size: 0
    .sgpr_count:     11
    .sgpr_spill_count: 0
    .symbol:         _Z16warp_load_kernelILj256ELj16ELj64ELN6hipcub17WarpLoadAlgorithmE2EiEvPT3_S3_.kd
    .uniform_work_group_size: 1
    .uses_dynamic_stack: false
    .vgpr_count:     39
    .vgpr_spill_count: 0
    .wavefront_size: 64
  - .agpr_count:     0
    .args:
      - .address_space:  global
        .offset:         0
        .size:           8
        .value_kind:     global_buffer
      - .address_space:  global
        .offset:         8
        .size:           8
        .value_kind:     global_buffer
    .group_segment_fixed_size: 16384
    .kernarg_segment_align: 8
    .kernarg_segment_size: 16
    .language:       OpenCL C
    .language_version:
      - 2
      - 0
    .max_flat_workgroup_size: 256
    .name:           _Z16warp_load_kernelILj256ELj16ELj64ELN6hipcub17WarpLoadAlgorithmE3EiEvPT3_S3_
    .private_segment_fixed_size: 0
    .sgpr_count:     11
    .sgpr_spill_count: 0
    .symbol:         _Z16warp_load_kernelILj256ELj16ELj64ELN6hipcub17WarpLoadAlgorithmE3EiEvPT3_S3_.kd
    .uniform_work_group_size: 1
    .uses_dynamic_stack: false
    .vgpr_count:     37
    .vgpr_spill_count: 0
    .wavefront_size: 64
  - .agpr_count:     0
    .args:
      - .address_space:  global
        .offset:         0
        .size:           8
        .value_kind:     global_buffer
      - .address_space:  global
        .offset:         8
        .size:           8
        .value_kind:     global_buffer
    .group_segment_fixed_size: 0
    .kernarg_segment_align: 8
    .kernarg_segment_size: 16
    .language:       OpenCL C
    .language_version:
      - 2
      - 0
    .max_flat_workgroup_size: 256
    .name:           _Z16warp_load_kernelILj256ELj32ELj64ELN6hipcub17WarpLoadAlgorithmE0EiEvPT3_S3_
    .private_segment_fixed_size: 0
    .sgpr_count:     11
    .sgpr_spill_count: 0
    .symbol:         _Z16warp_load_kernelILj256ELj32ELj64ELN6hipcub17WarpLoadAlgorithmE0EiEvPT3_S3_.kd
    .uniform_work_group_size: 1
    .uses_dynamic_stack: false
    .vgpr_count:     51
    .vgpr_spill_count: 0
    .wavefront_size: 64
  - .agpr_count:     0
    .args:
      - .address_space:  global
        .offset:         0
        .size:           8
        .value_kind:     global_buffer
      - .address_space:  global
        .offset:         8
        .size:           8
        .value_kind:     global_buffer
    .group_segment_fixed_size: 0
    .kernarg_segment_align: 8
    .kernarg_segment_size: 16
    .language:       OpenCL C
    .language_version:
      - 2
      - 0
    .max_flat_workgroup_size: 256
    .name:           _Z16warp_load_kernelILj256ELj32ELj64ELN6hipcub17WarpLoadAlgorithmE1EiEvPT3_S3_
    .private_segment_fixed_size: 0
    .sgpr_count:     11
    .sgpr_spill_count: 0
    .symbol:         _Z16warp_load_kernelILj256ELj32ELj64ELN6hipcub17WarpLoadAlgorithmE1EiEvPT3_S3_.kd
    .uniform_work_group_size: 1
    .uses_dynamic_stack: false
    .vgpr_count:     42
    .vgpr_spill_count: 0
    .wavefront_size: 64
  - .agpr_count:     0
    .args:
      - .address_space:  global
        .offset:         0
        .size:           8
        .value_kind:     global_buffer
      - .address_space:  global
        .offset:         8
        .size:           8
        .value_kind:     global_buffer
    .group_segment_fixed_size: 0
    .kernarg_segment_align: 8
    .kernarg_segment_size: 16
    .language:       OpenCL C
    .language_version:
      - 2
      - 0
    .max_flat_workgroup_size: 256
    .name:           _Z16warp_load_kernelILj256ELj32ELj64ELN6hipcub17WarpLoadAlgorithmE2EiEvPT3_S3_
    .private_segment_fixed_size: 0
    .sgpr_count:     11
    .sgpr_spill_count: 0
    .symbol:         _Z16warp_load_kernelILj256ELj32ELj64ELN6hipcub17WarpLoadAlgorithmE2EiEvPT3_S3_.kd
    .uniform_work_group_size: 1
    .uses_dynamic_stack: false
    .vgpr_count:     51
    .vgpr_spill_count: 0
    .wavefront_size: 64
  - .agpr_count:     0
    .args:
      - .address_space:  global
        .offset:         0
        .size:           8
        .value_kind:     global_buffer
      - .address_space:  global
        .offset:         8
        .size:           8
        .value_kind:     global_buffer
    .group_segment_fixed_size: 32768
    .kernarg_segment_align: 8
    .kernarg_segment_size: 16
    .language:       OpenCL C
    .language_version:
      - 2
      - 0
    .max_flat_workgroup_size: 256
    .name:           _Z16warp_load_kernelILj256ELj32ELj64ELN6hipcub17WarpLoadAlgorithmE3EiEvPT3_S3_
    .private_segment_fixed_size: 0
    .sgpr_count:     11
    .sgpr_spill_count: 0
    .symbol:         _Z16warp_load_kernelILj256ELj32ELj64ELN6hipcub17WarpLoadAlgorithmE3EiEvPT3_S3_.kd
    .uniform_work_group_size: 1
    .uses_dynamic_stack: false
    .vgpr_count:     38
    .vgpr_spill_count: 0
    .wavefront_size: 64
  - .agpr_count:     0
    .args:
      - .address_space:  global
        .offset:         0
        .size:           8
        .value_kind:     global_buffer
      - .address_space:  global
        .offset:         8
        .size:           8
        .value_kind:     global_buffer
    .group_segment_fixed_size: 0
    .kernarg_segment_align: 8
    .kernarg_segment_size: 16
    .language:       OpenCL C
    .language_version:
      - 2
      - 0
    .max_flat_workgroup_size: 256
    .name:           _Z16warp_load_kernelILj256ELj64ELj64ELN6hipcub17WarpLoadAlgorithmE0EiEvPT3_S3_
    .private_segment_fixed_size: 0
    .sgpr_count:     11
    .sgpr_spill_count: 0
    .symbol:         _Z16warp_load_kernelILj256ELj64ELj64ELN6hipcub17WarpLoadAlgorithmE0EiEvPT3_S3_.kd
    .uniform_work_group_size: 1
    .uses_dynamic_stack: false
    .vgpr_count:     71
    .vgpr_spill_count: 0
    .wavefront_size: 64
  - .agpr_count:     0
    .args:
      - .address_space:  global
        .offset:         0
        .size:           8
        .value_kind:     global_buffer
      - .address_space:  global
        .offset:         8
        .size:           8
        .value_kind:     global_buffer
    .group_segment_fixed_size: 0
    .kernarg_segment_align: 8
    .kernarg_segment_size: 16
    .language:       OpenCL C
    .language_version:
      - 2
      - 0
    .max_flat_workgroup_size: 256
    .name:           _Z16warp_load_kernelILj256ELj64ELj64ELN6hipcub17WarpLoadAlgorithmE1EiEvPT3_S3_
    .private_segment_fixed_size: 0
    .sgpr_count:     11
    .sgpr_spill_count: 0
    .symbol:         _Z16warp_load_kernelILj256ELj64ELj64ELN6hipcub17WarpLoadAlgorithmE1EiEvPT3_S3_.kd
    .uniform_work_group_size: 1
    .uses_dynamic_stack: false
    .vgpr_count:     70
    .vgpr_spill_count: 0
    .wavefront_size: 64
  - .agpr_count:     0
    .args:
      - .address_space:  global
        .offset:         0
        .size:           8
        .value_kind:     global_buffer
      - .address_space:  global
        .offset:         8
        .size:           8
        .value_kind:     global_buffer
    .group_segment_fixed_size: 0
    .kernarg_segment_align: 8
    .kernarg_segment_size: 16
    .language:       OpenCL C
    .language_version:
      - 2
      - 0
    .max_flat_workgroup_size: 256
    .name:           _Z16warp_load_kernelILj256ELj64ELj64ELN6hipcub17WarpLoadAlgorithmE2EiEvPT3_S3_
    .private_segment_fixed_size: 0
    .sgpr_count:     11
    .sgpr_spill_count: 0
    .symbol:         _Z16warp_load_kernelILj256ELj64ELj64ELN6hipcub17WarpLoadAlgorithmE2EiEvPT3_S3_.kd
    .uniform_work_group_size: 1
    .uses_dynamic_stack: false
    .vgpr_count:     71
    .vgpr_spill_count: 0
    .wavefront_size: 64
  - .agpr_count:     0
    .args:
      - .address_space:  global
        .offset:         0
        .size:           8
        .value_kind:     global_buffer
      - .address_space:  global
        .offset:         8
        .size:           8
        .value_kind:     global_buffer
    .group_segment_fixed_size: 0
    .kernarg_segment_align: 8
    .kernarg_segment_size: 16
    .language:       OpenCL C
    .language_version:
      - 2
      - 0
    .max_flat_workgroup_size: 256
    .name:           _Z16warp_load_kernelILj256ELj4ELj64ELN6hipcub17WarpLoadAlgorithmE0EdEvPT3_S3_
    .private_segment_fixed_size: 0
    .sgpr_count:     11
    .sgpr_spill_count: 0
    .symbol:         _Z16warp_load_kernelILj256ELj4ELj64ELN6hipcub17WarpLoadAlgorithmE0EdEvPT3_S3_.kd
    .uniform_work_group_size: 1
    .uses_dynamic_stack: false
    .vgpr_count:     20
    .vgpr_spill_count: 0
    .wavefront_size: 64
  - .agpr_count:     0
    .args:
      - .address_space:  global
        .offset:         0
        .size:           8
        .value_kind:     global_buffer
      - .address_space:  global
        .offset:         8
        .size:           8
        .value_kind:     global_buffer
    .group_segment_fixed_size: 0
    .kernarg_segment_align: 8
    .kernarg_segment_size: 16
    .language:       OpenCL C
    .language_version:
      - 2
      - 0
    .max_flat_workgroup_size: 256
    .name:           _Z16warp_load_kernelILj256ELj4ELj64ELN6hipcub17WarpLoadAlgorithmE1EdEvPT3_S3_
    .private_segment_fixed_size: 0
    .sgpr_count:     11
    .sgpr_spill_count: 0
    .symbol:         _Z16warp_load_kernelILj256ELj4ELj64ELN6hipcub17WarpLoadAlgorithmE1EdEvPT3_S3_.kd
    .uniform_work_group_size: 1
    .uses_dynamic_stack: false
    .vgpr_count:     20
    .vgpr_spill_count: 0
    .wavefront_size: 64
  - .agpr_count:     0
    .args:
      - .address_space:  global
        .offset:         0
        .size:           8
        .value_kind:     global_buffer
      - .address_space:  global
        .offset:         8
        .size:           8
        .value_kind:     global_buffer
    .group_segment_fixed_size: 0
    .kernarg_segment_align: 8
    .kernarg_segment_size: 16
    .language:       OpenCL C
    .language_version:
      - 2
      - 0
    .max_flat_workgroup_size: 256
    .name:           _Z16warp_load_kernelILj256ELj4ELj64ELN6hipcub17WarpLoadAlgorithmE2EdEvPT3_S3_
    .private_segment_fixed_size: 0
    .sgpr_count:     11
    .sgpr_spill_count: 0
    .symbol:         _Z16warp_load_kernelILj256ELj4ELj64ELN6hipcub17WarpLoadAlgorithmE2EdEvPT3_S3_.kd
    .uniform_work_group_size: 1
    .uses_dynamic_stack: false
    .vgpr_count:     20
    .vgpr_spill_count: 0
    .wavefront_size: 64
  - .agpr_count:     0
    .args:
      - .address_space:  global
        .offset:         0
        .size:           8
        .value_kind:     global_buffer
      - .address_space:  global
        .offset:         8
        .size:           8
        .value_kind:     global_buffer
    .group_segment_fixed_size: 8192
    .kernarg_segment_align: 8
    .kernarg_segment_size: 16
    .language:       OpenCL C
    .language_version:
      - 2
      - 0
    .max_flat_workgroup_size: 256
    .name:           _Z16warp_load_kernelILj256ELj4ELj64ELN6hipcub17WarpLoadAlgorithmE3EdEvPT3_S3_
    .private_segment_fixed_size: 0
    .sgpr_count:     11
    .sgpr_spill_count: 0
    .symbol:         _Z16warp_load_kernelILj256ELj4ELj64ELN6hipcub17WarpLoadAlgorithmE3EdEvPT3_S3_.kd
    .uniform_work_group_size: 1
    .uses_dynamic_stack: false
    .vgpr_count:     25
    .vgpr_spill_count: 0
    .wavefront_size: 64
  - .agpr_count:     0
    .args:
      - .address_space:  global
        .offset:         0
        .size:           8
        .value_kind:     global_buffer
      - .address_space:  global
        .offset:         8
        .size:           8
        .value_kind:     global_buffer
    .group_segment_fixed_size: 0
    .kernarg_segment_align: 8
    .kernarg_segment_size: 16
    .language:       OpenCL C
    .language_version:
      - 2
      - 0
    .max_flat_workgroup_size: 256
    .name:           _Z16warp_load_kernelILj256ELj8ELj64ELN6hipcub17WarpLoadAlgorithmE0EdEvPT3_S3_
    .private_segment_fixed_size: 0
    .sgpr_count:     11
    .sgpr_spill_count: 0
    .symbol:         _Z16warp_load_kernelILj256ELj8ELj64ELN6hipcub17WarpLoadAlgorithmE0EdEvPT3_S3_.kd
    .uniform_work_group_size: 1
    .uses_dynamic_stack: false
    .vgpr_count:     37
    .vgpr_spill_count: 0
    .wavefront_size: 64
  - .agpr_count:     0
    .args:
      - .address_space:  global
        .offset:         0
        .size:           8
        .value_kind:     global_buffer
      - .address_space:  global
        .offset:         8
        .size:           8
        .value_kind:     global_buffer
    .group_segment_fixed_size: 0
    .kernarg_segment_align: 8
    .kernarg_segment_size: 16
    .language:       OpenCL C
    .language_version:
      - 2
      - 0
    .max_flat_workgroup_size: 256
    .name:           _Z16warp_load_kernelILj256ELj8ELj64ELN6hipcub17WarpLoadAlgorithmE1EdEvPT3_S3_
    .private_segment_fixed_size: 0
    .sgpr_count:     11
    .sgpr_spill_count: 0
    .symbol:         _Z16warp_load_kernelILj256ELj8ELj64ELN6hipcub17WarpLoadAlgorithmE1EdEvPT3_S3_.kd
    .uniform_work_group_size: 1
    .uses_dynamic_stack: false
    .vgpr_count:     36
    .vgpr_spill_count: 0
    .wavefront_size: 64
  - .agpr_count:     0
    .args:
      - .address_space:  global
        .offset:         0
        .size:           8
        .value_kind:     global_buffer
      - .address_space:  global
        .offset:         8
        .size:           8
        .value_kind:     global_buffer
    .group_segment_fixed_size: 0
    .kernarg_segment_align: 8
    .kernarg_segment_size: 16
    .language:       OpenCL C
    .language_version:
      - 2
      - 0
    .max_flat_workgroup_size: 256
    .name:           _Z16warp_load_kernelILj256ELj8ELj64ELN6hipcub17WarpLoadAlgorithmE2EdEvPT3_S3_
    .private_segment_fixed_size: 0
    .sgpr_count:     11
    .sgpr_spill_count: 0
    .symbol:         _Z16warp_load_kernelILj256ELj8ELj64ELN6hipcub17WarpLoadAlgorithmE2EdEvPT3_S3_.kd
    .uniform_work_group_size: 1
    .uses_dynamic_stack: false
    .vgpr_count:     37
    .vgpr_spill_count: 0
    .wavefront_size: 64
  - .agpr_count:     0
    .args:
      - .address_space:  global
        .offset:         0
        .size:           8
        .value_kind:     global_buffer
      - .address_space:  global
        .offset:         8
        .size:           8
        .value_kind:     global_buffer
    .group_segment_fixed_size: 16384
    .kernarg_segment_align: 8
    .kernarg_segment_size: 16
    .language:       OpenCL C
    .language_version:
      - 2
      - 0
    .max_flat_workgroup_size: 256
    .name:           _Z16warp_load_kernelILj256ELj8ELj64ELN6hipcub17WarpLoadAlgorithmE3EdEvPT3_S3_
    .private_segment_fixed_size: 0
    .sgpr_count:     11
    .sgpr_spill_count: 0
    .symbol:         _Z16warp_load_kernelILj256ELj8ELj64ELN6hipcub17WarpLoadAlgorithmE3EdEvPT3_S3_.kd
    .uniform_work_group_size: 1
    .uses_dynamic_stack: false
    .vgpr_count:     38
    .vgpr_spill_count: 0
    .wavefront_size: 64
  - .agpr_count:     0
    .args:
      - .address_space:  global
        .offset:         0
        .size:           8
        .value_kind:     global_buffer
      - .address_space:  global
        .offset:         8
        .size:           8
        .value_kind:     global_buffer
    .group_segment_fixed_size: 0
    .kernarg_segment_align: 8
    .kernarg_segment_size: 16
    .language:       OpenCL C
    .language_version:
      - 2
      - 0
    .max_flat_workgroup_size: 256
    .name:           _Z16warp_load_kernelILj256ELj16ELj64ELN6hipcub17WarpLoadAlgorithmE0EdEvPT3_S3_
    .private_segment_fixed_size: 0
    .sgpr_count:     11
    .sgpr_spill_count: 0
    .symbol:         _Z16warp_load_kernelILj256ELj16ELj64ELN6hipcub17WarpLoadAlgorithmE0EdEvPT3_S3_.kd
    .uniform_work_group_size: 1
    .uses_dynamic_stack: false
    .vgpr_count:     57
    .vgpr_spill_count: 0
    .wavefront_size: 64
  - .agpr_count:     0
    .args:
      - .address_space:  global
        .offset:         0
        .size:           8
        .value_kind:     global_buffer
      - .address_space:  global
        .offset:         8
        .size:           8
        .value_kind:     global_buffer
    .group_segment_fixed_size: 0
    .kernarg_segment_align: 8
    .kernarg_segment_size: 16
    .language:       OpenCL C
    .language_version:
      - 2
      - 0
    .max_flat_workgroup_size: 256
    .name:           _Z16warp_load_kernelILj256ELj16ELj64ELN6hipcub17WarpLoadAlgorithmE1EdEvPT3_S3_
    .private_segment_fixed_size: 0
    .sgpr_count:     11
    .sgpr_spill_count: 0
    .symbol:         _Z16warp_load_kernelILj256ELj16ELj64ELN6hipcub17WarpLoadAlgorithmE1EdEvPT3_S3_.kd
    .uniform_work_group_size: 1
    .uses_dynamic_stack: false
    .vgpr_count:     47
    .vgpr_spill_count: 0
    .wavefront_size: 64
  - .agpr_count:     0
    .args:
      - .address_space:  global
        .offset:         0
        .size:           8
        .value_kind:     global_buffer
      - .address_space:  global
        .offset:         8
        .size:           8
        .value_kind:     global_buffer
    .group_segment_fixed_size: 0
    .kernarg_segment_align: 8
    .kernarg_segment_size: 16
    .language:       OpenCL C
    .language_version:
      - 2
      - 0
    .max_flat_workgroup_size: 256
    .name:           _Z16warp_load_kernelILj256ELj16ELj64ELN6hipcub17WarpLoadAlgorithmE2EdEvPT3_S3_
    .private_segment_fixed_size: 0
    .sgpr_count:     11
    .sgpr_spill_count: 0
    .symbol:         _Z16warp_load_kernelILj256ELj16ELj64ELN6hipcub17WarpLoadAlgorithmE2EdEvPT3_S3_.kd
    .uniform_work_group_size: 1
    .uses_dynamic_stack: false
    .vgpr_count:     57
    .vgpr_spill_count: 0
    .wavefront_size: 64
  - .agpr_count:     0
    .args:
      - .address_space:  global
        .offset:         0
        .size:           8
        .value_kind:     global_buffer
      - .address_space:  global
        .offset:         8
        .size:           8
        .value_kind:     global_buffer
    .group_segment_fixed_size: 0
    .kernarg_segment_align: 8
    .kernarg_segment_size: 16
    .language:       OpenCL C
    .language_version:
      - 2
      - 0
    .max_flat_workgroup_size: 256
    .name:           _Z16warp_load_kernelILj256ELj32ELj64ELN6hipcub17WarpLoadAlgorithmE0EdEvPT3_S3_
    .private_segment_fixed_size: 0
    .sgpr_count:     11
    .sgpr_spill_count: 0
    .symbol:         _Z16warp_load_kernelILj256ELj32ELj64ELN6hipcub17WarpLoadAlgorithmE0EdEvPT3_S3_.kd
    .uniform_work_group_size: 1
    .uses_dynamic_stack: false
    .vgpr_count:     81
    .vgpr_spill_count: 0
    .wavefront_size: 64
  - .agpr_count:     0
    .args:
      - .address_space:  global
        .offset:         0
        .size:           8
        .value_kind:     global_buffer
      - .address_space:  global
        .offset:         8
        .size:           8
        .value_kind:     global_buffer
    .group_segment_fixed_size: 0
    .kernarg_segment_align: 8
    .kernarg_segment_size: 16
    .language:       OpenCL C
    .language_version:
      - 2
      - 0
    .max_flat_workgroup_size: 256
    .name:           _Z16warp_load_kernelILj256ELj32ELj64ELN6hipcub17WarpLoadAlgorithmE1EdEvPT3_S3_
    .private_segment_fixed_size: 0
    .sgpr_count:     11
    .sgpr_spill_count: 0
    .symbol:         _Z16warp_load_kernelILj256ELj32ELj64ELN6hipcub17WarpLoadAlgorithmE1EdEvPT3_S3_.kd
    .uniform_work_group_size: 1
    .uses_dynamic_stack: false
    .vgpr_count:     72
    .vgpr_spill_count: 0
    .wavefront_size: 64
  - .agpr_count:     0
    .args:
      - .address_space:  global
        .offset:         0
        .size:           8
        .value_kind:     global_buffer
      - .address_space:  global
        .offset:         8
        .size:           8
        .value_kind:     global_buffer
    .group_segment_fixed_size: 0
    .kernarg_segment_align: 8
    .kernarg_segment_size: 16
    .language:       OpenCL C
    .language_version:
      - 2
      - 0
    .max_flat_workgroup_size: 256
    .name:           _Z16warp_load_kernelILj256ELj32ELj64ELN6hipcub17WarpLoadAlgorithmE2EdEvPT3_S3_
    .private_segment_fixed_size: 0
    .sgpr_count:     11
    .sgpr_spill_count: 0
    .symbol:         _Z16warp_load_kernelILj256ELj32ELj64ELN6hipcub17WarpLoadAlgorithmE2EdEvPT3_S3_.kd
    .uniform_work_group_size: 1
    .uses_dynamic_stack: false
    .vgpr_count:     81
    .vgpr_spill_count: 0
    .wavefront_size: 64
  - .agpr_count:     0
    .args:
      - .address_space:  global
        .offset:         0
        .size:           8
        .value_kind:     global_buffer
      - .address_space:  global
        .offset:         8
        .size:           8
        .value_kind:     global_buffer
    .group_segment_fixed_size: 0
    .kernarg_segment_align: 8
    .kernarg_segment_size: 16
    .language:       OpenCL C
    .language_version:
      - 2
      - 0
    .max_flat_workgroup_size: 256
    .name:           _Z16warp_load_kernelILj256ELj64ELj64ELN6hipcub17WarpLoadAlgorithmE0EdEvPT3_S3_
    .private_segment_fixed_size: 0
    .sgpr_count:     11
    .sgpr_spill_count: 0
    .symbol:         _Z16warp_load_kernelILj256ELj64ELj64ELN6hipcub17WarpLoadAlgorithmE0EdEvPT3_S3_.kd
    .uniform_work_group_size: 1
    .uses_dynamic_stack: false
    .vgpr_count:     138
    .vgpr_spill_count: 0
    .wavefront_size: 64
  - .agpr_count:     0
    .args:
      - .address_space:  global
        .offset:         0
        .size:           8
        .value_kind:     global_buffer
      - .address_space:  global
        .offset:         8
        .size:           8
        .value_kind:     global_buffer
    .group_segment_fixed_size: 0
    .kernarg_segment_align: 8
    .kernarg_segment_size: 16
    .language:       OpenCL C
    .language_version:
      - 2
      - 0
    .max_flat_workgroup_size: 256
    .name:           _Z16warp_load_kernelILj256ELj64ELj64ELN6hipcub17WarpLoadAlgorithmE1EdEvPT3_S3_
    .private_segment_fixed_size: 0
    .sgpr_count:     11
    .sgpr_spill_count: 0
    .symbol:         _Z16warp_load_kernelILj256ELj64ELj64ELN6hipcub17WarpLoadAlgorithmE1EdEvPT3_S3_.kd
    .uniform_work_group_size: 1
    .uses_dynamic_stack: false
    .vgpr_count:     134
    .vgpr_spill_count: 0
    .wavefront_size: 64
  - .agpr_count:     0
    .args:
      - .address_space:  global
        .offset:         0
        .size:           8
        .value_kind:     global_buffer
      - .address_space:  global
        .offset:         8
        .size:           8
        .value_kind:     global_buffer
    .group_segment_fixed_size: 0
    .kernarg_segment_align: 8
    .kernarg_segment_size: 16
    .language:       OpenCL C
    .language_version:
      - 2
      - 0
    .max_flat_workgroup_size: 256
    .name:           _Z16warp_load_kernelILj256ELj64ELj64ELN6hipcub17WarpLoadAlgorithmE2EdEvPT3_S3_
    .private_segment_fixed_size: 0
    .sgpr_count:     11
    .sgpr_spill_count: 0
    .symbol:         _Z16warp_load_kernelILj256ELj64ELj64ELN6hipcub17WarpLoadAlgorithmE2EdEvPT3_S3_.kd
    .uniform_work_group_size: 1
    .uses_dynamic_stack: false
    .vgpr_count:     138
    .vgpr_spill_count: 0
    .wavefront_size: 64
amdhsa.target:   amdgcn-amd-amdhsa--gfx90a
amdhsa.version:
  - 1
  - 2
...

	.end_amdgpu_metadata
